;; amdgpu-corpus repo=ROCm/aiter kind=harvested arch=n/a opt=n/a

/root/src/amdgpu-assembly/repos/ROCm__aiter/hsa/gfx950/fmoe_2stages/fmoe_stage1_bf16_pertokenFp8_doweight_g1u1_48x128_2tg_pf3.co:	file format elf64-amdgpu

Disassembly of section .text:

0000000000002a00 <_ZN5aiter57fmoe_stage1_bf16_pertokenFp8_doweight_g1u1_48x128_2tg_pf3E>:
	s_and_b32 s1, s1, 0xffff                                   // 000000002A00: 8601FF01 0000FFFF
	s_load_dwordx2 s[8:9], s[0:1], 0x0                         // 000000002A08: C0060200 00000000
	s_load_dwordx2 s[20:21], s[0:1], 0x10                      // 000000002A10: C0060500 00000010
	s_load_dwordx2 s[24:25], s[0:1], 0x20                      // 000000002A18: C0060600 00000020
	s_load_dwordx2 s[48:49], s[0:1], 0x30                      // 000000002A20: C0060C00 00000030
	s_load_dwordx2 s[28:29], s[0:1], 0x40                      // 000000002A28: C0060700 00000040
	s_load_dwordx2 s[32:33], s[0:1], 0x50                      // 000000002A30: C0060800 00000050
	s_load_dwordx2 s[36:37], s[0:1], 0x60                      // 000000002A38: C0060900 00000060
	s_load_dwordx2 s[12:13], s[0:1], 0x70                      // 000000002A40: C0060300 00000070
	s_load_dwordx2 s[44:45], s[0:1], 0x80                      // 000000002A48: C0060B00 00000080
	s_mov_b32 s89, 0                                           // 000000002A50: BED90080
	s_load_dword s64, s[0:1], 0x90                             // 000000002A54: C0021000 00000090
	s_load_dword s65, s[0:1], 0xa0                             // 000000002A5C: C0021040 000000A0
	s_load_dword s66, s[0:1], 0xb0                             // 000000002A64: C0021080 000000B0
	s_load_dword s67, s[0:1], 0xc0                             // 000000002A6C: C00210C0 000000C0
	s_load_dword s68, s[0:1], 0xd0                             // 000000002A74: C0021100 000000D0
	s_load_dword s69, s[0:1], 0xe0                             // 000000002A7C: C0021140 000000E0
	s_load_dword s71, s[0:1], 0xf0                             // 000000002A84: C00211C0 000000F0
	s_load_dword s72, s[0:1], 0x100                            // 000000002A8C: C0021200 00000100
	s_load_dword s74, s[0:1], 0x110                            // 000000002A94: C0021280 00000110
	s_load_dword s76, s[0:1], 0x120                            // 000000002A9C: C0021300 00000120
	s_load_dword s56, s[0:1], 0x130                            // 000000002AA4: C0020E00 00000130
	s_load_dword s88, s[0:1], 0x140                            // 000000002AAC: C0021600 00000140
	s_load_dword s89, s[0:1], 0x150                            // 000000002AB4: C0021640 00000150
	s_load_dwordx2 s[40:41], s[0:1], 0x160                     // 000000002ABC: C0060A00 00000160
	v_lshrrev_b32_e32 v1, 10, v0                               // 000000002AC4: 2002008A
	v_lshrrev_b32_e32 v2, 10, v1                               // 000000002AC8: 2004028A
	v_and_b32_e32 v2, 0x3ff, v2                                // 000000002ACC: 260404FF 000003FF
	v_and_b32_e32 v1, 0x3ff, v1                                // 000000002AD4: 260202FF 000003FF
	v_and_b32_e32 v0, 0x3ff, v0                                // 000000002ADC: 260000FF 000003FF
	v_lshrrev_b32_e32 v3, 6, v0                                // 000000002AE4: 20060086
	v_and_b32_e32 v0, 63, v0                                   // 000000002AE8: 260000BF
	s_mov_b32 s2, s2                                           // 000000002AEC: BE820002
	s_mov_b32 s3, s3                                           // 000000002AF0: BE830003
	s_mov_b32 s4, s4                                           // 000000002AF4: BE840004
	v_readfirstlane_b32 s7, v3                                 // 000000002AF8: 7E0E0503
	s_waitcnt lgkmcnt(0)                                       // 000000002AFC: BF8CC07F
	s_and_b32 s49, s49, 0xffff                                 // 000000002B00: 8631FF31 0000FFFF
	s_load_dword s48, s[48:49], 0x0                            // 000000002B08: C0020C18 00000000
	s_and_b32 s45, s45, 0xffff                                 // 000000002B10: 862DFF2D 0000FFFF
	s_and_b32 s9, s9, 0xffff                                   // 000000002B18: 8609FF09 0000FFFF
	s_mul_i32 s60, s66, s68                                    // 000000002B20: 923C4442
	s_mul_i32 s61, s66, 4                                      // 000000002B24: 923D8442
	s_mov_b32 s22, s60                                         // 000000002B28: BE96003C
	s_mov_b32 s26, -16                                         // 000000002B2C: BE9A00D0
	s_mov_b32 s30, s61                                         // 000000002B30: BE9E003D
	s_mov_b32 s14, 0xc0                                        // 000000002B34: BE8E00FF 000000C0
	s_mov_b32 s38, -16                                         // 000000002B3C: BEA600D0
	s_mov_b32 s10, -16                                         // 000000002B40: BE8A00D0
	s_mov_b32 s34, 0x200                                       // 000000002B44: BEA200FF 00000200
	s_mov_b32 s23, 0x20000                                     // 000000002B4C: BE9700FF 00020000
	s_mov_b32 s27, 0x20000                                     // 000000002B54: BE9B00FF 00020000
	s_mov_b32 s31, 0x20000                                     // 000000002B5C: BE9F00FF 00020000
	s_mov_b32 s35, 0x20000                                     // 000000002B64: BEA300FF 00020000
	s_mov_b32 s15, 0x20000                                     // 000000002B6C: BE8F00FF 00020000
	s_mov_b32 s39, 0x20000                                     // 000000002B74: BEA700FF 00020000
	s_mov_b32 s11, 0x20000                                     // 000000002B7C: BE8B00FF 00020000
	s_and_b32 s21, s21, 0xffff                                 // 000000002B84: 8615FF15 0000FFFF
	s_and_b32 s25, s25, 0xffff                                 // 000000002B8C: 8619FF19 0000FFFF
	s_and_b32 s29, s29, 0xffff                                 // 000000002B94: 861DFF1D 0000FFFF
	s_and_b32 s33, s33, 0xffff                                 // 000000002B9C: 8621FF21 0000FFFF
	s_and_b32 s13, s13, 0xffff                                 // 000000002BA4: 860DFF0D 0000FFFF
	s_and_b32 s37, s37, 0xffff                                 // 000000002BAC: 8625FF25 0000FFFF
	s_or_b32 s21, s21, 0x40000                                 // 000000002BB4: 8715FF15 00040000
	s_or_b32 s25, s25, 0x40000                                 // 000000002BBC: 8719FF19 00040000
	s_or_b32 s29, s29, 0x40000                                 // 000000002BC4: 871DFF1D 00040000
	s_or_b32 s33, s33, 0x40000                                 // 000000002BCC: 8721FF21 00040000
	s_or_b32 s13, s13, 0x40000                                 // 000000002BD4: 870DFF0D 00040000
	s_or_b32 s37, s37, 0x40000                                 // 000000002BDC: 8725FF25 00040000
	s_mov_b32 s42, -16                                         // 000000002BE4: BEAA00D0
	s_mov_b32 s43, 0x20000                                     // 000000002BE8: BEAB00FF 00020000
	s_and_b32 s41, s41, 0xffff                                 // 000000002BF0: 8629FF29 0000FFFF
	s_or_b32 s41, s41, 0x40000                                 // 000000002BF8: 8729FF29 00040000
	v_accvgpr_write_b32 a95, 0                                 // 000000002C00: D3D9405F 18000080
	v_mov_b32_e32 v102, 0                                      // 000000002C08: 7ECC0280
	s_waitcnt lgkmcnt(0)                                       // 000000002C0C: BF8CC07F
	s_mul_i32 s60, s3, 48                                      // 000000002C10: 923CB003
	s_cmp_lt_i32 s60, s48                                      // 000000002C14: BF04303C
	s_cbranch_scc0 label_18DF                                  // 000000002C18: BF841855
	s_mov_b32 s80, 0                                           // 000000002C1C: BED00080
	s_lshr_b32 s81, s64, s88                                   // 000000002C20: 8F515840
	s_mul_i32 s60, s3, 4                                       // 000000002C24: 923C8403
	s_add_u32 s44, s60, s44                                    // 000000002C28: 802C2C3C
	s_addc_u32 s45, 0, s45                                     // 000000002C2C: 822D2D80
	s_load_dword s5, s[44:45], 0x0                             // 000000002C30: C0020156 00000000
	s_mul_i32 s60, s3, 48                                      // 000000002C38: 923CB003
	s_mul_i32 s60, 4, s60                                      // 000000002C3C: 923C3C84
	s_add_u32 s12, s60, s12                                    // 000000002C40: 800C0C3C
	s_addc_u32 s13, 0, s13                                     // 000000002C44: 820D0D80
	v_and_b32_e32 v4, 15, v0                                   // 000000002C48: 2608008F
	v_lshlrev_b32_e32 v4, 2, v4                                // 000000002C4C: 24080882
	buffer_load_dword v30, v4, s[12:15], 0 offen               // 000000002C50: E0501000 80031E04
	v_add_u32_e32 v4, 64, v4                                   // 000000002C58: 680808C0
	buffer_load_dword v31, v4, s[12:15], 0 offen               // 000000002C5C: E0501000 80031F04
	v_add_u32_e32 v4, 64, v4                                   // 000000002C64: 680808C0
	buffer_load_dword v32, v4, s[12:15], 0 offen               // 000000002C68: E0501000 80032004
	v_add_u32_e32 v4, 64, v4                                   // 000000002C70: 680808C0
	s_mul_i32 s60, 4, s7                                       // 000000002C74: 923C0784
	v_lshlrev_b32_e32 v4, 4, v0                                // 000000002C78: 24080084
	v_add_u32_e32 v4, s60, v4                                  // 000000002C7C: 6808083C
	buffer_load_dword v3, v4, s[12:15], 0 offen                // 000000002C80: E0501000 80030304
	v_mov_b32_e32 v52, 0                                       // 000000002C88: 7E680280
	v_mov_b32_e32 v76, 0                                       // 000000002C8C: 7E980280
	v_mov_b32_e32 v53, 0                                       // 000000002C90: 7E6A0280
	v_mov_b32_e32 v77, 0                                       // 000000002C94: 7E9A0280
	v_mov_b32_e32 v54, 0                                       // 000000002C98: 7E6C0280
	v_mov_b32_e32 v78, 0                                       // 000000002C9C: 7E9C0280
	v_mov_b32_e32 v55, 0                                       // 000000002CA0: 7E6E0280
	v_mov_b32_e32 v79, 0                                       // 000000002CA4: 7E9E0280
	v_mov_b32_e32 v56, 0                                       // 000000002CA8: 7E700280
	v_mov_b32_e32 v80, 0                                       // 000000002CAC: 7EA00280
	v_mov_b32_e32 v57, 0                                       // 000000002CB0: 7E720280
	v_mov_b32_e32 v81, 0                                       // 000000002CB4: 7EA20280
	v_mov_b32_e32 v58, 0                                       // 000000002CB8: 7E740280
	v_mov_b32_e32 v82, 0                                       // 000000002CBC: 7EA40280
	v_mov_b32_e32 v59, 0                                       // 000000002CC0: 7E760280
	v_mov_b32_e32 v83, 0                                       // 000000002CC4: 7EA60280
	v_mov_b32_e32 v60, 0                                       // 000000002CC8: 7E780280
	v_mov_b32_e32 v84, 0                                       // 000000002CCC: 7EA80280
	v_mov_b32_e32 v61, 0                                       // 000000002CD0: 7E7A0280
	v_mov_b32_e32 v85, 0                                       // 000000002CD4: 7EAA0280
	v_mov_b32_e32 v62, 0                                       // 000000002CD8: 7E7C0280
	v_mov_b32_e32 v86, 0                                       // 000000002CDC: 7EAC0280
	v_mov_b32_e32 v63, 0                                       // 000000002CE0: 7E7E0280
	v_mov_b32_e32 v87, 0                                       // 000000002CE4: 7EAE0280
	v_mov_b32_e32 v64, 0                                       // 000000002CE8: 7E800280
	v_mov_b32_e32 v88, 0                                       // 000000002CEC: 7EB00280
	v_mov_b32_e32 v65, 0                                       // 000000002CF0: 7E820280
	v_mov_b32_e32 v89, 0                                       // 000000002CF4: 7EB20280
	v_mov_b32_e32 v66, 0                                       // 000000002CF8: 7E840280
	v_mov_b32_e32 v90, 0                                       // 000000002CFC: 7EB40280
	v_mov_b32_e32 v67, 0                                       // 000000002D00: 7E860280
	v_mov_b32_e32 v91, 0                                       // 000000002D04: 7EB60280
	v_mov_b32_e32 v68, 0                                       // 000000002D08: 7E880280
	v_mov_b32_e32 v92, 0                                       // 000000002D0C: 7EB80280
	v_mov_b32_e32 v69, 0                                       // 000000002D10: 7E8A0280
	v_mov_b32_e32 v93, 0                                       // 000000002D14: 7EBA0280
	v_mov_b32_e32 v70, 0                                       // 000000002D18: 7E8C0280
	v_mov_b32_e32 v94, 0                                       // 000000002D1C: 7EBC0280
	v_mov_b32_e32 v71, 0                                       // 000000002D20: 7E8E0280
	v_mov_b32_e32 v95, 0                                       // 000000002D24: 7EBE0280
	v_mov_b32_e32 v72, 0                                       // 000000002D28: 7E900280
	v_mov_b32_e32 v96, 0                                       // 000000002D2C: 7EC00280
	v_mov_b32_e32 v73, 0                                       // 000000002D30: 7E920280
	v_mov_b32_e32 v97, 0                                       // 000000002D34: 7EC20280
	v_mov_b32_e32 v74, 0                                       // 000000002D38: 7E940280
	v_mov_b32_e32 v98, 0                                       // 000000002D3C: 7EC40280
	v_mov_b32_e32 v75, 0                                       // 000000002D40: 7E960280
	v_mov_b32_e32 v99, 0                                       // 000000002D44: 7EC60280
	s_mul_i32 s60, s2, 0x100                                   // 000000002D48: 923CFF02 00000100
	s_cmp_eq_u32 s88, 0                                        // 000000002D50: BF068058
	s_cselect_b32 s61, 1, 2                                    // 000000002D54: 853D8281
	s_mul_i32 s60, s60, s61                                    // 000000002D58: 923C3D3C
	s_mov_b32 s90, s8                                          // 000000002D5C: BEDA0008
	s_mov_b32 s91, s9                                          // 000000002D60: BEDB0009
	s_add_u32 s8, s60, s8                                      // 000000002D64: 8008083C
	s_addc_u32 s9, 0, s9                                       // 000000002D68: 82090980
	v_lshrrev_b32_e32 v4, 4, v0                                // 000000002D6C: 20080084
	v_mul_lo_u32 v20, 34, v4                                   // 000000002D70: D2850014 000208A2
	v_and_b32_e32 v4, 15, v0                                   // 000000002D78: 2608008F
	v_mul_lo_u32 v5, 2, v4                                     // 000000002D7C: D2850005 00020882
	v_add_u32_e32 v20, v5, v20                                 // 000000002D84: 68282905
	s_mul_i32 s60, s7, 0x88                                    // 000000002D88: 923CFF07 00000088
	v_add_u32_e32 v20, s60, v20                                // 000000002D90: 6828283C
	v_lshlrev_b32_e32 v20, 2, v20                              // 000000002D94: 24282882
	v_and_b32_e32 v4, 31, v0                                   // 000000002D98: 2608009F
	v_lshrrev_b32_e32 v4, 1, v4                                // 000000002D9C: 20080881
	v_mul_lo_u32 v21, 34, v4                                   // 000000002DA0: D2850015 000208A2
	v_lshrrev_b32_e32 v4, 5, v0                                // 000000002DA8: 20080085
	v_mul_lo_u32 v4, 8, v4                                     // 000000002DAC: D2850004 00020888
	v_add_u32_e32 v21, v21, v4                                 // 000000002DB4: 682A0915
	v_and_b32_e32 v5, 1, v0                                    // 000000002DB8: 260A0081
	v_add_u32_e32 v21, v5, v21                                 // 000000002DBC: 682A2B05
	s_mul_i32 s60, s7, 2                                       // 000000002DC0: 923C8207
	v_add_u32_e32 v21, s60, v21                                // 000000002DC4: 682A2A3C
	v_lshlrev_b32_e32 v21, 2, v21                              // 000000002DC8: 242A2A82
	s_mul_i32 s60, s7, 0x620                                   // 000000002DCC: 923CFF07 00000620
	s_add_u32 s48, 0, s60                                      // 000000002DD4: 80303C80
	s_add_u32 s49, 0x1880, s48                                 // 000000002DD8: 803130FF 00001880
	s_add_u32 s50, 0x1880, s49                                 // 000000002DE0: 803231FF 00001880
	v_lshrrev_b32_e32 v4, 4, v0                                // 000000002DE8: 20080084
	v_lshlrev_b32_e32 v5, 2, v4                                // 000000002DEC: 240A0882
	v_and_b32_e32 v4, 15, v0                                   // 000000002DF0: 2608008F
	v_lshrrev_b32_e32 v6, 2, v4                                // 000000002DF4: 200C0882
	v_lshlrev_b32_e32 v6, 5, v6                                // 000000002DF8: 240C0C85
	v_add_u32_e32 v5, v6, v5                                   // 000000002DFC: 680A0B06
	v_and_b32_e32 v4, 3, v0                                    // 000000002E00: 26080083
	v_mul_u32_u24_e32 v6, 0x188, v4                            // 000000002E04: 100C08FF 00000188
	v_add_u32_e32 v5, v6, v5                                   // 000000002E0C: 680A0B06
	v_lshlrev_b32_e32 v2, 2, v5                                // 000000002E10: 24040A82
	s_waitcnt lgkmcnt(0)                                       // 000000002E14: BF8CC07F
	s_mul_i32 s60, s2, 0x80                                    // 000000002E18: 923CFF02 00000080
	s_mul_i32 s60, s60, s69                                    // 000000002E20: 923C453C
	s_mul_i32 s61, s5, s72                                     // 000000002E24: 923D4805
	s_add_u32 s60, s61, s60                                    // 000000002E28: 803C3C3D
	s_add_u32 s24, s60, s24                                    // 000000002E2C: 8018183C
	s_addc_u32 s25, 0, s25                                     // 000000002E30: 82191980
	s_lshr_b32 s60, s64, s88                                   // 000000002E34: 8F3C5840
	s_mul_i32 s60, s4, s60                                     // 000000002E38: 923C3C04
	s_lshr_b32 s60, s60, 7                                     // 000000002E3C: 8F3C873C
	s_mul_i32 s60, s60, 0x800                                  // 000000002E40: 923CFF3C 00000800
	s_add_u32 s24, s60, s24                                    // 000000002E48: 8018183C
	s_addc_u32 s25, 0, s25                                     // 000000002E4C: 82191980
	s_lshr_b32 s60, s69, s88                                   // 000000002E50: 8F3C5845
	s_mul_i32 s60, s4, s60                                     // 000000002E54: 923C3C04
	s_add_u32 s20, s60, s20                                    // 000000002E58: 8014143C
	s_addc_u32 s21, 0, s21                                     // 000000002E5C: 82151580
	s_mul_i32 s60, s7, 16                                      // 000000002E60: 923C9007
	s_mul_i32 s60, s60, s69                                    // 000000002E64: 923C453C
	v_lshlrev_b32_e32 v48, 4, v0                               // 000000002E68: 24600084
	v_add_u32_e32 v48, s60, v48                                // 000000002E6C: 6860603C
	s_mul_i32 s60, 64, s69                                     // 000000002E70: 923C45C0
	v_add_u32_e32 v49, s60, v48                                // 000000002E74: 6862603C
	s_mov_b32 s84, s24                                         // 000000002E78: BED40018
	s_mov_b32 s85, s25                                         // 000000002E7C: BED50019
	s_mov_b32 s86, s26                                         // 000000002E80: BED6001A
	s_mov_b32 s87, s27                                         // 000000002E84: BED7001B
	s_mul_i32 s60, s69, s65                                    // 000000002E88: 923C4145
	s_add_u32 s84, s60, s84                                    // 000000002E8C: 8054543C
	s_addc_u32 s85, 0, s85                                     // 000000002E90: 82555580
	v_lshrrev_b32_e32 v4, 4, v0                                // 000000002E94: 20080084
	v_lshlrev_b32_e32 v5, 2, v4                                // 000000002E98: 240A0882
	v_and_b32_e32 v4, 15, v0                                   // 000000002E9C: 2608008F
	v_lshrrev_b32_e32 v6, 2, v4                                // 000000002EA0: 200C0882
	v_lshlrev_b32_e32 v6, 6, v6                                // 000000002EA4: 240C0C86
	v_add_u32_e32 v5, v6, v5                                   // 000000002EA8: 680A0B06
	v_and_b32_e32 v4, 3, v0                                    // 000000002EAC: 26080083
	v_add_u32_e32 v5, v4, v5                                   // 000000002EB0: 680A0B04
	v_lshlrev_b32_e32 v22, 2, v5                               // 000000002EB4: 242C0A82
	s_mul_i32 s60, s7, 16                                      // 000000002EB8: 923C9007
	s_mul_i32 s60, s60, 4                                      // 000000002EBC: 923C843C
	v_add_u32_e32 v22, s60, v22                                // 000000002EC0: 682C2C3C
	s_mul_i32 s60, s2, 0x80                                    // 000000002EC4: 923CFF02 00000080
	s_mul_i32 s60, s60, 4                                      // 000000002ECC: 923C843C
	s_mul_i32 s61, s5, s74                                     // 000000002ED0: 923D4A05
	s_add_u32 s61, s61, s60                                    // 000000002ED4: 803D3C3D
	s_add_u32 s32, s61, s32                                    // 000000002ED8: 8020203D
	s_addc_u32 s33, 0, s33                                     // 000000002EDC: 82212180
	s_mov_b32 s57, 0x80                                        // 000000002EE0: BEB900FF 00000080
	s_mov_b32 s58, 0x800                                       // 000000002EE8: BEBA00FF 00000800
	s_mov_b32 s83, s58                                         // 000000002EF0: BED3003A
	s_mov_b32 s52, 0x7060302                                   // 000000002EF4: BEB400FF 07060302
	s_mov_b32 s53, 0x400                                       // 000000002EFC: BEB500FF 00000400
	s_mov_b32 s54, 0x40100                                     // 000000002F04: BEB600FF 00040100
	s_mov_b32 s55, 0x4020100                                   // 000000002F0C: BEB700FF 04020100
	s_mov_b32 s6, 0x3fb8aa3b                                   // 000000002F14: BE8600FF 3FB8AA3B
	s_mov_b32 s78, 0xbd92220c                                  // 000000002F1C: BECE00FF BD92220C
	s_mov_b32 s79, 0xbd92220c                                  // 000000002F24: BECF00FF BD92220C
	s_mov_b32 m0, s48                                          // 000000002F2C: BEFC0030
	v_mov_b32_e32 v1, 0xbfcc4231                               // 000000002F30: 7E0202FF BFCC4231
	v_mov_b32_e32 v17, 0xffff0000                              // 000000002F38: 7E2202FF FFFF0000
	v_mov_b32_e32 v18, 0x7fff0000                              // 000000002F40: 7E2402FF 7FFF0000
	v_mov_b32_e32 v19, 0x7fff                                  // 000000002F48: 7E2602FF 00007FFF
	s_waitcnt vmcnt(0) expcnt(0) lgkmcnt(0)                    // 000000002F50: BF8C0000
	s_mul_i32 s60, s3, 48                                      // 000000002F54: 923CB003
	s_mul_i32 s60, 4, s60                                      // 000000002F58: 923C3C84
	s_add_u32 s40, s60, s40                                    // 000000002F5C: 8028283C
	s_addc_u32 s41, 0, s41                                     // 000000002F60: 82292980
	v_and_b32_e32 v4, 15, v0                                   // 000000002F64: 2608008F
	v_lshlrev_b32_e32 v4, 2, v4                                // 000000002F68: 24080882
	buffer_load_dword v100, v4, s[40:43], 0 offen              // 000000002F6C: E0501000 800A6404
	buffer_load_dword v101, v4, s[40:43], 0 offen offset:64    // 000000002F74: E0501040 800A6504
	buffer_load_dword v102, v4, s[40:43], 0 offen offset:128   // 000000002F7C: E0501080 800A6604
	v_lshrrev_b32_e32 v4, 5, v0                                // 000000002F84: 20080085
	v_xor_b32_e32 v5, 1, v4                                    // 000000002F88: 2A0A0881
	v_readlane_b32 s82, v3, 0                                  // 000000002F8C: D2890052 00010103
	s_and_b32 s82, s82, 0xffffff                               // 000000002F94: 8652FF52 00FFFFFF
	v_mul_lo_u32 v6, v5, s82                                   // 000000002F9C: D2850006 0000A505
	v_readlane_b32 s82, v3, 1                                  // 000000002FA4: D2890052 00010303
	s_and_b32 s82, s82, 0xffffff                               // 000000002FAC: 8652FF52 00FFFFFF
	v_mul_lo_u32 v7, v4, s82                                   // 000000002FB4: D2850007 0000A504
	v_add_u32_e32 v42, v6, v7                                  // 000000002FBC: 68540F06
	v_mul_lo_u32 v42, v42, s68                                 // 000000002FC0: D285002A 0000892A
	v_readlane_b32 s82, v3, 2                                  // 000000002FC8: D2890052 00010503
	s_and_b32 s82, s82, 0xffffff                               // 000000002FD0: 8652FF52 00FFFFFF
	v_mul_lo_u32 v6, v5, s82                                   // 000000002FD8: D2850006 0000A505
	v_readlane_b32 s82, v3, 3                                  // 000000002FE0: D2890052 00010703
	s_and_b32 s82, s82, 0xffffff                               // 000000002FE8: 8652FF52 00FFFFFF
	v_mul_lo_u32 v7, v4, s82                                   // 000000002FF0: D2850007 0000A504
	v_add_u32_e32 v43, v6, v7                                  // 000000002FF8: 68560F06
	v_mul_lo_u32 v43, v43, s68                                 // 000000002FFC: D285002B 0000892B
	v_readlane_b32 s82, v3, 4                                  // 000000003004: D2890052 00010903
	s_and_b32 s82, s82, 0xffffff                               // 00000000300C: 8652FF52 00FFFFFF
	v_mul_lo_u32 v6, v5, s82                                   // 000000003014: D2850006 0000A505
	v_readlane_b32 s82, v3, 5                                  // 00000000301C: D2890052 00010B03
	s_and_b32 s82, s82, 0xffffff                               // 000000003024: 8652FF52 00FFFFFF
	v_mul_lo_u32 v7, v4, s82                                   // 00000000302C: D2850007 0000A504
	v_add_u32_e32 v44, v6, v7                                  // 000000003034: 68580F06
	v_mul_lo_u32 v44, v44, s68                                 // 000000003038: D285002C 0000892C
	v_readlane_b32 s82, v3, 6                                  // 000000003040: D2890052 00010D03
	s_and_b32 s82, s82, 0xffffff                               // 000000003048: 8652FF52 00FFFFFF
	v_mul_lo_u32 v6, v5, s82                                   // 000000003050: D2850006 0000A505
	v_readlane_b32 s82, v3, 7                                  // 000000003058: D2890052 00010F03
	s_and_b32 s82, s82, 0xffffff                               // 000000003060: 8652FF52 00FFFFFF
	v_mul_lo_u32 v7, v4, s82                                   // 000000003068: D2850007 0000A504
	v_add_u32_e32 v45, v6, v7                                  // 000000003070: 685A0F06
	v_mul_lo_u32 v45, v45, s68                                 // 000000003074: D285002D 0000892D
	v_readlane_b32 s82, v3, 8                                  // 00000000307C: D2890052 00011103
	s_and_b32 s82, s82, 0xffffff                               // 000000003084: 8652FF52 00FFFFFF
	v_mul_lo_u32 v6, v5, s82                                   // 00000000308C: D2850006 0000A505
	v_readlane_b32 s82, v3, 9                                  // 000000003094: D2890052 00011303
	s_and_b32 s82, s82, 0xffffff                               // 00000000309C: 8652FF52 00FFFFFF
	v_mul_lo_u32 v7, v4, s82                                   // 0000000030A4: D2850007 0000A504
	v_add_u32_e32 v46, v6, v7                                  // 0000000030AC: 685C0F06
	v_mul_lo_u32 v46, v46, s68                                 // 0000000030B0: D285002E 0000892E
	v_readlane_b32 s82, v3, 10                                 // 0000000030B8: D2890052 00011503
	s_and_b32 s82, s82, 0xffffff                               // 0000000030C0: 8652FF52 00FFFFFF
	v_mul_lo_u32 v6, v5, s82                                   // 0000000030C8: D2850006 0000A505
	v_readlane_b32 s82, v3, 11                                 // 0000000030D0: D2890052 00011703
	s_and_b32 s82, s82, 0xffffff                               // 0000000030D8: 8652FF52 00FFFFFF
	v_mul_lo_u32 v7, v4, s82                                   // 0000000030E0: D2850007 0000A504
	v_add_u32_e32 v47, v6, v7                                  // 0000000030E8: 685E0F06
	v_mul_lo_u32 v47, v47, s68                                 // 0000000030EC: D285002F 0000892F
	v_and_b32_e32 v4, 31, v0                                   // 0000000030F4: 2608009F
	v_lshlrev_b32_e32 v4, 2, v4                                // 0000000030F8: 24080882
	v_add_u32_e32 v42, v42, v4                                 // 0000000030FC: 6854092A
	v_add_u32_e32 v43, v43, v4                                 // 000000003100: 6856092B
	v_add_u32_e32 v44, v44, v4                                 // 000000003104: 6858092C
	v_add_u32_e32 v45, v45, v4                                 // 000000003108: 685A092D
	v_add_u32_e32 v46, v46, v4                                 // 00000000310C: 685C092E
	v_add_u32_e32 v47, v47, v4                                 // 000000003110: 685E092F
	v_and_b32_e32 v30, 0xffffff, v30                           // 000000003114: 263C3CFF 00FFFFFF
	v_lshlrev_b32_e32 v30, 2, v30                              // 00000000311C: 243C3C82
	v_and_b32_e32 v31, 0xffffff, v31                           // 000000003120: 263E3EFF 00FFFFFF
	v_lshlrev_b32_e32 v31, 2, v31                              // 000000003128: 243E3E82
	v_and_b32_e32 v32, 0xffffff, v32                           // 00000000312C: 264040FF 00FFFFFF
	v_lshlrev_b32_e32 v32, 2, v32                              // 000000003134: 24404082
	s_lshl_b32 s3, s66, 2                                      // 000000003138: 8E038242
	buffer_load_dword v33, v30, s[28:31], 0 offen              // 00000000313C: E0501000 8007211E
	buffer_load_dword v34, v31, s[28:31], 0 offen              // 000000003144: E0501000 8007221F
	buffer_load_dword v35, v32, s[28:31], 0 offen              // 00000000314C: E0501000 80072320
	buffer_load_dword v24, v22, s[32:35], 0 offen              // 000000003154: E0501000 80081816
	s_mul_i32 s60, 4, s65                                      // 00000000315C: 923C4184
	s_add_u32 s32, s60, s32                                    // 000000003160: 8020203C
	s_addc_u32 s33, 0, s33                                     // 000000003164: 82212180
	buffer_load_dword v27, v22, s[32:35], 0 offen              // 000000003168: E0501000 80081B16
	buffer_load_dword v42, s[20:23], 0 offen lds               // 000000003170: E0511000 8005002A
	s_add_u32 m0, 0x100, s48                                   // 000000003178: 807C30FF 00000100
	buffer_load_dword v43, s[20:23], 0 offen lds               // 000000003180: E0511000 8005002B
	s_add_u32 m0, 0x200, s48                                   // 000000003188: 807C30FF 00000200
	buffer_load_dword v44, s[20:23], 0 offen lds               // 000000003190: E0511000 8005002C
	s_add_u32 m0, 0x300, s48                                   // 000000003198: 807C30FF 00000300
	buffer_load_dword v45, s[20:23], 0 offen lds               // 0000000031A0: E0511000 8005002D
	s_add_u32 m0, 0x400, s48                                   // 0000000031A8: 807C30FF 00000400
	buffer_load_dword v46, s[20:23], 0 offen lds               // 0000000031B0: E0511000 8005002E
	s_add_u32 m0, 0x500, s48                                   // 0000000031B8: 807C30FF 00000500
	buffer_load_dword v47, s[20:23], 0 offen lds               // 0000000031C0: E0511000 8005002F
	s_add_u32 m0, 0, s49                                       // 0000000031C8: 807C3180
	s_add_u32 s20, s57, s20                                    // 0000000031CC: 80141439
	s_addc_u32 s21, 0, s21                                     // 0000000031D0: 82151580
	buffer_load_dwordx4 a[48:51], v48, s[24:27], 0 offen       // 0000000031D4: E05C1000 80863030
	buffer_load_dwordx4 a[52:55], v48, s[24:27], 0 offen offset:1024// 0000000031DC: E05C1400 80863430
	buffer_load_dwordx4 a[56:59], v49, s[24:27], 0 offen       // 0000000031E4: E05C1000 80863831
	buffer_load_dwordx4 a[60:63], v49, s[24:27], 0 offen offset:1024// 0000000031EC: E05C1400 80863C31
	s_add_u32 s24, s58, s24                                    // 0000000031F4: 8018183A
	s_addc_u32 s25, 0, s25                                     // 0000000031F8: 82191980
	buffer_load_dword v42, s[20:23], 0 offen lds               // 0000000031FC: E0511000 8005002A
	s_add_u32 m0, 0x100, s49                                   // 000000003204: 807C31FF 00000100
	buffer_load_dword v43, s[20:23], 0 offen lds               // 00000000320C: E0511000 8005002B
	s_add_u32 m0, 0x200, s49                                   // 000000003214: 807C31FF 00000200
	buffer_load_dword v44, s[20:23], 0 offen lds               // 00000000321C: E0511000 8005002C
	s_add_u32 m0, 0x300, s49                                   // 000000003224: 807C31FF 00000300
	buffer_load_dword v45, s[20:23], 0 offen lds               // 00000000322C: E0511000 8005002D
	s_add_u32 m0, 0x400, s49                                   // 000000003234: 807C31FF 00000400
	buffer_load_dword v46, s[20:23], 0 offen lds               // 00000000323C: E0511000 8005002E
	s_add_u32 m0, 0x500, s49                                   // 000000003244: 807C31FF 00000500
	buffer_load_dword v47, s[20:23], 0 offen lds               // 00000000324C: E0511000 8005002F
	s_add_u32 m0, 0, s50                                       // 000000003254: 807C3280
	s_add_u32 s20, s57, s20                                    // 000000003258: 80141439
	s_addc_u32 s21, 0, s21                                     // 00000000325C: 82151580
	buffer_load_dwordx4 a[64:67], v48, s[84:87], 0 offen       // 000000003260: E05C1000 80954030
	buffer_load_dwordx4 a[68:71], v48, s[84:87], 0 offen offset:1024// 000000003268: E05C1400 80954430
	buffer_load_dwordx4 a[72:75], v49, s[84:87], 0 offen       // 000000003270: E05C1000 80954831
	buffer_load_dwordx4 a[76:79], v49, s[84:87], 0 offen offset:1024// 000000003278: E05C1400 80954C31
	s_add_u32 s84, s83, s84                                    // 000000003280: 80545453
	s_addc_u32 s85, 0, s85                                     // 000000003284: 82555580
	s_waitcnt vmcnt(14)                                        // 000000003288: BF8C0F7E
	s_barrier                                                  // 00000000328C: BF8A0000
	ds_read_b128 a[0:3], v2                                    // 000000003290: DBFE0000 00000002
	ds_read_b128 a[4:7], v2 offset:64                          // 000000003298: DBFE0040 04000002
	ds_read_b128 a[8:11], v2 offset:512                        // 0000000032A0: DBFE0200 08000002
	ds_read_b128 a[12:15], v2 offset:576                       // 0000000032A8: DBFE0240 0C000002
	ds_read_b128 a[16:19], v2 offset:1024                      // 0000000032B0: DBFE0400 10000002
	ds_read_b128 a[20:23], v2 offset:1088                      // 0000000032B8: DBFE0440 14000002
	s_cmp_lt_i32 s7, 2                                         // 0000000032C0: BF048207
	s_cbranch_scc0 label_0D8A                                  // 0000000032C4: BF840B55

00000000000032c8 <label_0232>:
	s_waitcnt vmcnt(10) lgkmcnt(0)                             // 0000000032C8: BF8C007A
	v_mfma_f32_16x16x32_fp8_fp8 v[52:55], a[48:49], a[0:1], v[52:55]// 0000000032CC: D3F30034 1CD20130
	v_mfma_f32_16x16x32_fp8_fp8 v[52:55], a[50:51], a[2:3], v[52:55]// 0000000032D4: D3F30034 1CD20532
	buffer_load_dwordx4 a[80:83], v48, s[24:27], 0 offen       // 0000000032DC: E05C1000 80865030
	v_mfma_f32_16x16x32_fp8_fp8 v[52:55], a[52:53], a[4:5], v[52:55]// 0000000032E4: D3F30034 1CD20934
	v_mfma_f32_16x16x32_fp8_fp8 v[52:55], a[54:55], a[6:7], v[52:55]// 0000000032EC: D3F30034 1CD20D36
	v_mfma_f32_16x16x32_fp8_fp8 v[64:67], a[56:57], a[0:1], v[64:67]// 0000000032F4: D3F30040 1D020138
	v_mfma_f32_16x16x32_fp8_fp8 v[64:67], a[58:59], a[2:3], v[64:67]// 0000000032FC: D3F30040 1D02053A
	buffer_load_dwordx4 a[84:87], v48, s[24:27], 0 offen offset:1024// 000000003304: E05C1400 80865430
	v_mfma_f32_16x16x32_fp8_fp8 v[64:67], a[60:61], a[4:5], v[64:67]// 00000000330C: D3F30040 1D02093C
	v_mfma_f32_16x16x32_fp8_fp8 v[64:67], a[62:63], a[6:7], v[64:67]// 000000003314: D3F30040 1D020D3E
	v_mfma_f32_16x16x32_fp8_fp8 v[56:59], a[48:49], a[8:9], v[56:59]// 00000000331C: D3F30038 1CE21130
	v_mfma_f32_16x16x32_fp8_fp8 v[56:59], a[50:51], a[10:11], v[56:59]// 000000003324: D3F30038 1CE21532
	buffer_load_dwordx4 a[88:91], v49, s[24:27], 0 offen       // 00000000332C: E05C1000 80865831
	v_mfma_f32_16x16x32_fp8_fp8 v[56:59], a[52:53], a[12:13], v[56:59]// 000000003334: D3F30038 1CE21934
	v_mfma_f32_16x16x32_fp8_fp8 v[56:59], a[54:55], a[14:15], v[56:59]// 00000000333C: D3F30038 1CE21D36
	v_mfma_f32_16x16x32_fp8_fp8 v[68:71], a[56:57], a[8:9], v[68:71]// 000000003344: D3F30044 1D121138
	v_mfma_f32_16x16x32_fp8_fp8 v[68:71], a[58:59], a[10:11], v[68:71]// 00000000334C: D3F30044 1D12153A
	buffer_load_dwordx4 a[92:95], v49, s[24:27], 0 offen offset:1024// 000000003354: E05C1400 80865C31
	buffer_load_dword v42, s[20:23], 0 offen lds               // 00000000335C: E0511000 8005002A
	s_add_u32 m0, 0x100, s50                                   // 000000003364: 807C32FF 00000100
	v_mfma_f32_16x16x32_fp8_fp8 v[68:71], a[60:61], a[12:13], v[68:71]// 00000000336C: D3F30044 1D12193C
	v_mfma_f32_16x16x32_fp8_fp8 v[68:71], a[62:63], a[14:15], v[68:71]// 000000003374: D3F30044 1D121D3E
	buffer_load_dword v43, s[20:23], 0 offen lds               // 00000000337C: E0511000 8005002B
	s_add_u32 m0, 0x200, s50                                   // 000000003384: 807C32FF 00000200
	v_mfma_f32_16x16x32_fp8_fp8 v[60:63], a[48:49], a[16:17], v[60:63]// 00000000338C: D3F3003C 1CF22130
	v_mfma_f32_16x16x32_fp8_fp8 v[60:63], a[50:51], a[18:19], v[60:63]// 000000003394: D3F3003C 1CF22532
	buffer_load_dword v44, s[20:23], 0 offen lds               // 00000000339C: E0511000 8005002C
	s_add_u32 m0, 0x300, s50                                   // 0000000033A4: 807C32FF 00000300
	v_mfma_f32_16x16x32_fp8_fp8 v[60:63], a[52:53], a[20:21], v[60:63]// 0000000033AC: D3F3003C 1CF22934
	v_mfma_f32_16x16x32_fp8_fp8 v[60:63], a[54:55], a[22:23], v[60:63]// 0000000033B4: D3F3003C 1CF22D36
	buffer_load_dword v45, s[20:23], 0 offen lds               // 0000000033BC: E0511000 8005002D
	s_add_u32 m0, 0x400, s50                                   // 0000000033C4: 807C32FF 00000400
	v_mfma_f32_16x16x32_fp8_fp8 v[72:75], a[56:57], a[16:17], v[72:75]// 0000000033CC: D3F30048 1D222138
	v_mfma_f32_16x16x32_fp8_fp8 v[72:75], a[58:59], a[18:19], v[72:75]// 0000000033D4: D3F30048 1D22253A
	buffer_load_dword v46, s[20:23], 0 offen lds               // 0000000033DC: E0511000 8005002E
	s_add_u32 m0, 0x500, s50                                   // 0000000033E4: 807C32FF 00000500
	v_mfma_f32_16x16x32_fp8_fp8 v[72:75], a[60:61], a[20:21], v[72:75]// 0000000033EC: D3F30048 1D22293C
	v_mfma_f32_16x16x32_fp8_fp8 v[72:75], a[62:63], a[22:23], v[72:75]// 0000000033F4: D3F30048 1D222D3E
	buffer_load_dword v47, s[20:23], 0 offen lds               // 0000000033FC: E0511000 8005002F
	s_add_u32 m0, 0, s48                                       // 000000003404: 807C3080
	s_waitcnt vmcnt(10)                                        // 000000003408: BF8C0F7A
	s_barrier                                                  // 00000000340C: BF8A0000
	v_mfma_f32_16x16x32_fp8_fp8 v[76:79], a[64:65], a[0:1], v[76:79]// 000000003410: D3F3004C 1D320140
	v_mfma_f32_16x16x32_fp8_fp8 v[76:79], a[66:67], a[2:3], v[76:79]// 000000003418: D3F3004C 1D320542
	buffer_load_dwordx4 a[48:51], v48, s[84:87], 0 offen       // 000000003420: E05C1000 80953030
	v_mfma_f32_16x16x32_fp8_fp8 v[76:79], a[68:69], a[4:5], v[76:79]// 000000003428: D3F3004C 1D320944
	v_mfma_f32_16x16x32_fp8_fp8 v[76:79], a[70:71], a[6:7], v[76:79]// 000000003430: D3F3004C 1D320D46
	ds_read_b128 a[24:27], v2 offset:6272                      // 000000003438: DBFE1880 18000002
	ds_read_b128 a[28:31], v2 offset:6336                      // 000000003440: DBFE18C0 1C000002
	v_mfma_f32_16x16x32_fp8_fp8 v[88:91], a[72:73], a[0:1], v[88:91]// 000000003448: D3F30058 1D620148
	v_mfma_f32_16x16x32_fp8_fp8 v[88:91], a[74:75], a[2:3], v[88:91]// 000000003450: D3F30058 1D62054A
	buffer_load_dwordx4 a[52:55], v48, s[84:87], 0 offen offset:1024// 000000003458: E05C1400 80953430
	v_mfma_f32_16x16x32_fp8_fp8 v[88:91], a[76:77], a[4:5], v[88:91]// 000000003460: D3F30058 1D62094C
	v_mfma_f32_16x16x32_fp8_fp8 v[88:91], a[78:79], a[6:7], v[88:91]// 000000003468: D3F30058 1D620D4E
	ds_read_b128 a[32:35], v2 offset:6784                      // 000000003470: DBFE1A80 20000002
	ds_read_b128 a[36:39], v2 offset:6848                      // 000000003478: DBFE1AC0 24000002
	v_mfma_f32_16x16x32_fp8_fp8 v[80:83], a[64:65], a[8:9], v[80:83]// 000000003480: D3F30050 1D421140
	v_mfma_f32_16x16x32_fp8_fp8 v[80:83], a[66:67], a[10:11], v[80:83]// 000000003488: D3F30050 1D421542
	buffer_load_dwordx4 a[56:59], v49, s[84:87], 0 offen       // 000000003490: E05C1000 80953831
	v_mfma_f32_16x16x32_fp8_fp8 v[80:83], a[68:69], a[12:13], v[80:83]// 000000003498: D3F30050 1D421944
	v_mfma_f32_16x16x32_fp8_fp8 v[80:83], a[70:71], a[14:15], v[80:83]// 0000000034A0: D3F30050 1D421D46
	ds_read_b128 a[40:43], v2 offset:7296                      // 0000000034A8: DBFE1C80 28000002
	ds_read_b128 a[44:47], v2 offset:7360                      // 0000000034B0: DBFE1CC0 2C000002
	v_mfma_f32_16x16x32_fp8_fp8 v[92:95], a[72:73], a[8:9], v[92:95]// 0000000034B8: D3F3005C 1D721148
	v_mfma_f32_16x16x32_fp8_fp8 v[92:95], a[74:75], a[10:11], v[92:95]// 0000000034C0: D3F3005C 1D72154A
	buffer_load_dwordx4 a[60:63], v49, s[84:87], 0 offen offset:1024// 0000000034C8: E05C1400 80953C31
	v_mfma_f32_16x16x32_fp8_fp8 v[92:95], a[76:77], a[12:13], v[92:95]// 0000000034D0: D3F3005C 1D72194C
	v_mfma_f32_16x16x32_fp8_fp8 v[92:95], a[78:79], a[14:15], v[92:95]// 0000000034D8: D3F3005C 1D721D4E
	v_mfma_f32_16x16x32_fp8_fp8 v[84:87], a[64:65], a[16:17], v[84:87]// 0000000034E0: D3F30054 1D522140
	s_add_u32 s60, 0x180, s80                                  // 0000000034E8: 803C50FF 00000180
	s_cmp_lt_u32 s60, s81                                      // 0000000034F0: BF0A513C
	s_cselect_b32 s57, s57, 0                                  // 0000000034F4: 85398039
	v_mfma_f32_16x16x32_fp8_fp8 v[84:87], a[66:67], a[18:19], v[84:87]// 0000000034F8: D3F30054 1D522542
	s_add_u32 s60, 0x100, s80                                  // 000000003500: 803C50FF 00000100
	s_cmp_lt_u32 s60, s81                                      // 000000003508: BF0A513C
	s_cselect_b32 s58, s58, 0                                  // 00000000350C: 853A803A
	v_mfma_f32_16x16x32_fp8_fp8 v[84:87], a[68:69], a[20:21], v[84:87]// 000000003510: D3F30054 1D522944
	s_add_u32 s60, 0x100, s80                                  // 000000003518: 803C50FF 00000100
	s_cmp_lt_u32 s60, s81                                      // 000000003520: BF0A513C
	s_cselect_b32 s83, s83, 0                                  // 000000003524: 85538053
	v_mfma_f32_16x16x32_fp8_fp8 v[84:87], a[70:71], a[22:23], v[84:87]// 000000003528: D3F30054 1D522D46
	s_add_u32 s24, s58, s24                                    // 000000003530: 8018183A
	s_addc_u32 s25, 0, s25                                     // 000000003534: 82191980
	v_mfma_f32_16x16x32_fp8_fp8 v[96:99], a[72:73], a[16:17], v[96:99]// 000000003538: D3F30060 1D822148
	s_add_u32 s20, s57, s20                                    // 000000003540: 80141439
	s_addc_u32 s21, 0, s21                                     // 000000003544: 82151580
	v_mfma_f32_16x16x32_fp8_fp8 v[96:99], a[74:75], a[18:19], v[96:99]// 000000003548: D3F30060 1D82254A
	s_add_u32 s84, s83, s84                                    // 000000003550: 80545453
	s_addc_u32 s85, 0, s85                                     // 000000003554: 82555580
	v_mfma_f32_16x16x32_fp8_fp8 v[96:99], a[76:77], a[20:21], v[96:99]// 000000003558: D3F30060 1D82294C
	v_mfma_f32_16x16x32_fp8_fp8 v[96:99], a[78:79], a[22:23], v[96:99]// 000000003560: D3F30060 1D822D4E
	s_addk_i32 s80, 0x80                                       // 000000003568: B7500080
	s_cmp_lt_i32 s80, s81                                      // 00000000356C: BF045150
	s_cbranch_scc0 label_0635                                  // 000000003570: BF840358
	s_waitcnt vmcnt(10) lgkmcnt(0)                             // 000000003574: BF8C007A
	v_mfma_f32_16x16x32_fp8_fp8 v[52:55], a[80:81], a[24:25], v[52:55]// 000000003578: D3F30034 1CD23150
	v_mfma_f32_16x16x32_fp8_fp8 v[52:55], a[82:83], a[26:27], v[52:55]// 000000003580: D3F30034 1CD23552
	buffer_load_dwordx4 a[64:67], v48, s[24:27], 0 offen       // 000000003588: E05C1000 80864030
	v_mfma_f32_16x16x32_fp8_fp8 v[52:55], a[84:85], a[28:29], v[52:55]// 000000003590: D3F30034 1CD23954
	v_mfma_f32_16x16x32_fp8_fp8 v[52:55], a[86:87], a[30:31], v[52:55]// 000000003598: D3F30034 1CD23D56
	v_mfma_f32_16x16x32_fp8_fp8 v[64:67], a[88:89], a[24:25], v[64:67]// 0000000035A0: D3F30040 1D023158
	v_mfma_f32_16x16x32_fp8_fp8 v[64:67], a[90:91], a[26:27], v[64:67]// 0000000035A8: D3F30040 1D02355A
	buffer_load_dwordx4 a[68:71], v48, s[24:27], 0 offen offset:1024// 0000000035B0: E05C1400 80864430
	v_mfma_f32_16x16x32_fp8_fp8 v[64:67], a[92:93], a[28:29], v[64:67]// 0000000035B8: D3F30040 1D02395C
	v_mfma_f32_16x16x32_fp8_fp8 v[64:67], a[94:95], a[30:31], v[64:67]// 0000000035C0: D3F30040 1D023D5E
	v_mfma_f32_16x16x32_fp8_fp8 v[56:59], a[80:81], a[32:33], v[56:59]// 0000000035C8: D3F30038 1CE24150
	v_mfma_f32_16x16x32_fp8_fp8 v[56:59], a[82:83], a[34:35], v[56:59]// 0000000035D0: D3F30038 1CE24552
	buffer_load_dwordx4 a[72:75], v49, s[24:27], 0 offen       // 0000000035D8: E05C1000 80864831
	v_mfma_f32_16x16x32_fp8_fp8 v[56:59], a[84:85], a[36:37], v[56:59]// 0000000035E0: D3F30038 1CE24954
	v_mfma_f32_16x16x32_fp8_fp8 v[56:59], a[86:87], a[38:39], v[56:59]// 0000000035E8: D3F30038 1CE24D56
	v_mfma_f32_16x16x32_fp8_fp8 v[68:71], a[88:89], a[32:33], v[68:71]// 0000000035F0: D3F30044 1D124158
	v_mfma_f32_16x16x32_fp8_fp8 v[68:71], a[90:91], a[34:35], v[68:71]// 0000000035F8: D3F30044 1D12455A
	buffer_load_dwordx4 a[76:79], v49, s[24:27], 0 offen offset:1024// 000000003600: E05C1400 80864C31
	buffer_load_dword v42, s[20:23], 0 offen lds               // 000000003608: E0511000 8005002A
	s_add_u32 m0, 0x100, s48                                   // 000000003610: 807C30FF 00000100
	v_mfma_f32_16x16x32_fp8_fp8 v[68:71], a[92:93], a[36:37], v[68:71]// 000000003618: D3F30044 1D12495C
	v_mfma_f32_16x16x32_fp8_fp8 v[68:71], a[94:95], a[38:39], v[68:71]// 000000003620: D3F30044 1D124D5E
	buffer_load_dword v43, s[20:23], 0 offen lds               // 000000003628: E0511000 8005002B
	s_add_u32 m0, 0x200, s48                                   // 000000003630: 807C30FF 00000200
	v_mfma_f32_16x16x32_fp8_fp8 v[60:63], a[80:81], a[40:41], v[60:63]// 000000003638: D3F3003C 1CF25150
	v_mfma_f32_16x16x32_fp8_fp8 v[60:63], a[82:83], a[42:43], v[60:63]// 000000003640: D3F3003C 1CF25552
	buffer_load_dword v44, s[20:23], 0 offen lds               // 000000003648: E0511000 8005002C
	s_add_u32 m0, 0x300, s48                                   // 000000003650: 807C30FF 00000300
	v_mfma_f32_16x16x32_fp8_fp8 v[60:63], a[84:85], a[44:45], v[60:63]// 000000003658: D3F3003C 1CF25954
	v_mfma_f32_16x16x32_fp8_fp8 v[60:63], a[86:87], a[46:47], v[60:63]// 000000003660: D3F3003C 1CF25D56
	buffer_load_dword v45, s[20:23], 0 offen lds               // 000000003668: E0511000 8005002D
	s_add_u32 m0, 0x400, s48                                   // 000000003670: 807C30FF 00000400
	v_mfma_f32_16x16x32_fp8_fp8 v[72:75], a[88:89], a[40:41], v[72:75]// 000000003678: D3F30048 1D225158
	v_mfma_f32_16x16x32_fp8_fp8 v[72:75], a[90:91], a[42:43], v[72:75]// 000000003680: D3F30048 1D22555A
	buffer_load_dword v46, s[20:23], 0 offen lds               // 000000003688: E0511000 8005002E
	s_add_u32 m0, 0x500, s48                                   // 000000003690: 807C30FF 00000500
	v_mfma_f32_16x16x32_fp8_fp8 v[72:75], a[92:93], a[44:45], v[72:75]// 000000003698: D3F30048 1D22595C
	v_mfma_f32_16x16x32_fp8_fp8 v[72:75], a[94:95], a[46:47], v[72:75]// 0000000036A0: D3F30048 1D225D5E
	buffer_load_dword v47, s[20:23], 0 offen lds               // 0000000036A8: E0511000 8005002F
	s_add_u32 m0, 0, s49                                       // 0000000036B0: 807C3180
	s_waitcnt vmcnt(10)                                        // 0000000036B4: BF8C0F7A
	s_barrier                                                  // 0000000036B8: BF8A0000
	v_mfma_f32_16x16x32_fp8_fp8 v[76:79], a[48:49], a[24:25], v[76:79]// 0000000036BC: D3F3004C 1D323130
	v_mfma_f32_16x16x32_fp8_fp8 v[76:79], a[50:51], a[26:27], v[76:79]// 0000000036C4: D3F3004C 1D323532
	buffer_load_dwordx4 a[80:83], v48, s[84:87], 0 offen       // 0000000036CC: E05C1000 80955030
	v_mfma_f32_16x16x32_fp8_fp8 v[76:79], a[52:53], a[28:29], v[76:79]// 0000000036D4: D3F3004C 1D323934
	v_mfma_f32_16x16x32_fp8_fp8 v[76:79], a[54:55], a[30:31], v[76:79]// 0000000036DC: D3F3004C 1D323D36
	ds_read_b128 a[0:3], v2 offset:12544                       // 0000000036E4: DBFE3100 00000002
	ds_read_b128 a[4:7], v2 offset:12608                       // 0000000036EC: DBFE3140 04000002
	v_mfma_f32_16x16x32_fp8_fp8 v[88:91], a[56:57], a[24:25], v[88:91]// 0000000036F4: D3F30058 1D623138
	v_mfma_f32_16x16x32_fp8_fp8 v[88:91], a[58:59], a[26:27], v[88:91]// 0000000036FC: D3F30058 1D62353A
	buffer_load_dwordx4 a[84:87], v48, s[84:87], 0 offen offset:1024// 000000003704: E05C1400 80955430
	v_mfma_f32_16x16x32_fp8_fp8 v[88:91], a[60:61], a[28:29], v[88:91]// 00000000370C: D3F30058 1D62393C
	v_mfma_f32_16x16x32_fp8_fp8 v[88:91], a[62:63], a[30:31], v[88:91]// 000000003714: D3F30058 1D623D3E
	ds_read_b128 a[8:11], v2 offset:13056                      // 00000000371C: DBFE3300 08000002
	ds_read_b128 a[12:15], v2 offset:13120                     // 000000003724: DBFE3340 0C000002
	v_mfma_f32_16x16x32_fp8_fp8 v[80:83], a[48:49], a[32:33], v[80:83]// 00000000372C: D3F30050 1D424130
	v_mfma_f32_16x16x32_fp8_fp8 v[80:83], a[50:51], a[34:35], v[80:83]// 000000003734: D3F30050 1D424532
	buffer_load_dwordx4 a[88:91], v49, s[84:87], 0 offen       // 00000000373C: E05C1000 80955831
	v_mfma_f32_16x16x32_fp8_fp8 v[80:83], a[52:53], a[36:37], v[80:83]// 000000003744: D3F30050 1D424934
	v_mfma_f32_16x16x32_fp8_fp8 v[80:83], a[54:55], a[38:39], v[80:83]// 00000000374C: D3F30050 1D424D36
	ds_read_b128 a[16:19], v2 offset:13568                     // 000000003754: DBFE3500 10000002
	ds_read_b128 a[20:23], v2 offset:13632                     // 00000000375C: DBFE3540 14000002
	v_mfma_f32_16x16x32_fp8_fp8 v[92:95], a[56:57], a[32:33], v[92:95]// 000000003764: D3F3005C 1D724138
	v_mfma_f32_16x16x32_fp8_fp8 v[92:95], a[58:59], a[34:35], v[92:95]// 00000000376C: D3F3005C 1D72453A
	buffer_load_dwordx4 a[92:95], v49, s[84:87], 0 offen offset:1024// 000000003774: E05C1400 80955C31
	v_mfma_f32_16x16x32_fp8_fp8 v[92:95], a[60:61], a[36:37], v[92:95]// 00000000377C: D3F3005C 1D72493C
	v_mfma_f32_16x16x32_fp8_fp8 v[92:95], a[62:63], a[38:39], v[92:95]// 000000003784: D3F3005C 1D724D3E
	v_mfma_f32_16x16x32_fp8_fp8 v[84:87], a[48:49], a[40:41], v[84:87]// 00000000378C: D3F30054 1D525130
	s_add_u32 s60, 0x180, s80                                  // 000000003794: 803C50FF 00000180
	s_cmp_lt_u32 s60, s81                                      // 00000000379C: BF0A513C
	s_cselect_b32 s57, s57, 0                                  // 0000000037A0: 85398039
	v_mfma_f32_16x16x32_fp8_fp8 v[84:87], a[50:51], a[42:43], v[84:87]// 0000000037A4: D3F30054 1D525532
	s_add_u32 s60, 0x100, s80                                  // 0000000037AC: 803C50FF 00000100
	s_cmp_lt_u32 s60, s81                                      // 0000000037B4: BF0A513C
	s_cselect_b32 s58, s58, 0                                  // 0000000037B8: 853A803A
	v_mfma_f32_16x16x32_fp8_fp8 v[84:87], a[52:53], a[44:45], v[84:87]// 0000000037BC: D3F30054 1D525934
	s_add_u32 s60, 0x100, s80                                  // 0000000037C4: 803C50FF 00000100
	s_cmp_lt_u32 s60, s81                                      // 0000000037CC: BF0A513C
	s_cselect_b32 s83, s83, 0                                  // 0000000037D0: 85538053
	v_mfma_f32_16x16x32_fp8_fp8 v[84:87], a[54:55], a[46:47], v[84:87]// 0000000037D4: D3F30054 1D525D36
	s_add_u32 s24, s58, s24                                    // 0000000037DC: 8018183A
	s_addc_u32 s25, 0, s25                                     // 0000000037E0: 82191980
	v_mfma_f32_16x16x32_fp8_fp8 v[96:99], a[56:57], a[40:41], v[96:99]// 0000000037E4: D3F30060 1D825138
	s_add_u32 s20, s57, s20                                    // 0000000037EC: 80141439
	s_addc_u32 s21, 0, s21                                     // 0000000037F0: 82151580
	v_mfma_f32_16x16x32_fp8_fp8 v[96:99], a[58:59], a[42:43], v[96:99]// 0000000037F4: D3F30060 1D82553A
	s_add_u32 s84, s83, s84                                    // 0000000037FC: 80545453
	s_addc_u32 s85, 0, s85                                     // 000000003800: 82555580
	v_mfma_f32_16x16x32_fp8_fp8 v[96:99], a[60:61], a[44:45], v[96:99]// 000000003804: D3F30060 1D82593C
	v_mfma_f32_16x16x32_fp8_fp8 v[96:99], a[62:63], a[46:47], v[96:99]// 00000000380C: D3F30060 1D825D3E
	s_addk_i32 s80, 0x80                                       // 000000003814: B7500080
	s_cmp_lt_i32 s80, s81                                      // 000000003818: BF045150
	s_cbranch_scc0 label_0635                                  // 00000000381C: BF8402AD
	s_waitcnt vmcnt(10) lgkmcnt(0)                             // 000000003820: BF8C007A
	v_mfma_f32_16x16x32_fp8_fp8 v[52:55], a[64:65], a[0:1], v[52:55]// 000000003824: D3F30034 1CD20140
	v_mfma_f32_16x16x32_fp8_fp8 v[52:55], a[66:67], a[2:3], v[52:55]// 00000000382C: D3F30034 1CD20542
	buffer_load_dwordx4 a[48:51], v48, s[24:27], 0 offen       // 000000003834: E05C1000 80863030
	v_mfma_f32_16x16x32_fp8_fp8 v[52:55], a[68:69], a[4:5], v[52:55]// 00000000383C: D3F30034 1CD20944
	v_mfma_f32_16x16x32_fp8_fp8 v[52:55], a[70:71], a[6:7], v[52:55]// 000000003844: D3F30034 1CD20D46
	v_mfma_f32_16x16x32_fp8_fp8 v[64:67], a[72:73], a[0:1], v[64:67]// 00000000384C: D3F30040 1D020148
	v_mfma_f32_16x16x32_fp8_fp8 v[64:67], a[74:75], a[2:3], v[64:67]// 000000003854: D3F30040 1D02054A
	buffer_load_dwordx4 a[52:55], v48, s[24:27], 0 offen offset:1024// 00000000385C: E05C1400 80863430
	v_mfma_f32_16x16x32_fp8_fp8 v[64:67], a[76:77], a[4:5], v[64:67]// 000000003864: D3F30040 1D02094C
	v_mfma_f32_16x16x32_fp8_fp8 v[64:67], a[78:79], a[6:7], v[64:67]// 00000000386C: D3F30040 1D020D4E
	v_mfma_f32_16x16x32_fp8_fp8 v[56:59], a[64:65], a[8:9], v[56:59]// 000000003874: D3F30038 1CE21140
	v_mfma_f32_16x16x32_fp8_fp8 v[56:59], a[66:67], a[10:11], v[56:59]// 00000000387C: D3F30038 1CE21542
	buffer_load_dwordx4 a[56:59], v49, s[24:27], 0 offen       // 000000003884: E05C1000 80863831
	v_mfma_f32_16x16x32_fp8_fp8 v[56:59], a[68:69], a[12:13], v[56:59]// 00000000388C: D3F30038 1CE21944
	v_mfma_f32_16x16x32_fp8_fp8 v[56:59], a[70:71], a[14:15], v[56:59]// 000000003894: D3F30038 1CE21D46
	v_mfma_f32_16x16x32_fp8_fp8 v[68:71], a[72:73], a[8:9], v[68:71]// 00000000389C: D3F30044 1D121148
	v_mfma_f32_16x16x32_fp8_fp8 v[68:71], a[74:75], a[10:11], v[68:71]// 0000000038A4: D3F30044 1D12154A
	buffer_load_dwordx4 a[60:63], v49, s[24:27], 0 offen offset:1024// 0000000038AC: E05C1400 80863C31
	buffer_load_dword v42, s[20:23], 0 offen lds               // 0000000038B4: E0511000 8005002A
	s_add_u32 m0, 0x100, s49                                   // 0000000038BC: 807C31FF 00000100
	v_mfma_f32_16x16x32_fp8_fp8 v[68:71], a[76:77], a[12:13], v[68:71]// 0000000038C4: D3F30044 1D12194C
	v_mfma_f32_16x16x32_fp8_fp8 v[68:71], a[78:79], a[14:15], v[68:71]// 0000000038CC: D3F30044 1D121D4E
	buffer_load_dword v43, s[20:23], 0 offen lds               // 0000000038D4: E0511000 8005002B
	s_add_u32 m0, 0x200, s49                                   // 0000000038DC: 807C31FF 00000200
	v_mfma_f32_16x16x32_fp8_fp8 v[60:63], a[64:65], a[16:17], v[60:63]// 0000000038E4: D3F3003C 1CF22140
	v_mfma_f32_16x16x32_fp8_fp8 v[60:63], a[66:67], a[18:19], v[60:63]// 0000000038EC: D3F3003C 1CF22542
	buffer_load_dword v44, s[20:23], 0 offen lds               // 0000000038F4: E0511000 8005002C
	s_add_u32 m0, 0x300, s49                                   // 0000000038FC: 807C31FF 00000300
	v_mfma_f32_16x16x32_fp8_fp8 v[60:63], a[68:69], a[20:21], v[60:63]// 000000003904: D3F3003C 1CF22944
	v_mfma_f32_16x16x32_fp8_fp8 v[60:63], a[70:71], a[22:23], v[60:63]// 00000000390C: D3F3003C 1CF22D46
	buffer_load_dword v45, s[20:23], 0 offen lds               // 000000003914: E0511000 8005002D
	s_add_u32 m0, 0x400, s49                                   // 00000000391C: 807C31FF 00000400
	v_mfma_f32_16x16x32_fp8_fp8 v[72:75], a[72:73], a[16:17], v[72:75]// 000000003924: D3F30048 1D222148
	v_mfma_f32_16x16x32_fp8_fp8 v[72:75], a[74:75], a[18:19], v[72:75]// 00000000392C: D3F30048 1D22254A
	buffer_load_dword v46, s[20:23], 0 offen lds               // 000000003934: E0511000 8005002E
	s_add_u32 m0, 0x500, s49                                   // 00000000393C: 807C31FF 00000500
	v_mfma_f32_16x16x32_fp8_fp8 v[72:75], a[76:77], a[20:21], v[72:75]// 000000003944: D3F30048 1D22294C
	v_mfma_f32_16x16x32_fp8_fp8 v[72:75], a[78:79], a[22:23], v[72:75]// 00000000394C: D3F30048 1D222D4E
	buffer_load_dword v47, s[20:23], 0 offen lds               // 000000003954: E0511000 8005002F
	s_add_u32 m0, 0, s50                                       // 00000000395C: 807C3280
	s_waitcnt vmcnt(10)                                        // 000000003960: BF8C0F7A
	s_barrier                                                  // 000000003964: BF8A0000
	v_mfma_f32_16x16x32_fp8_fp8 v[76:79], a[80:81], a[0:1], v[76:79]// 000000003968: D3F3004C 1D320150
	v_mfma_f32_16x16x32_fp8_fp8 v[76:79], a[82:83], a[2:3], v[76:79]// 000000003970: D3F3004C 1D320552
	buffer_load_dwordx4 a[64:67], v48, s[84:87], 0 offen       // 000000003978: E05C1000 80954030
	v_mfma_f32_16x16x32_fp8_fp8 v[76:79], a[84:85], a[4:5], v[76:79]// 000000003980: D3F3004C 1D320954
	v_mfma_f32_16x16x32_fp8_fp8 v[76:79], a[86:87], a[6:7], v[76:79]// 000000003988: D3F3004C 1D320D56
	ds_read_b128 a[24:27], v2                                  // 000000003990: DBFE0000 18000002
	ds_read_b128 a[28:31], v2 offset:64                        // 000000003998: DBFE0040 1C000002
	v_mfma_f32_16x16x32_fp8_fp8 v[88:91], a[88:89], a[0:1], v[88:91]// 0000000039A0: D3F30058 1D620158
	v_mfma_f32_16x16x32_fp8_fp8 v[88:91], a[90:91], a[2:3], v[88:91]// 0000000039A8: D3F30058 1D62055A
	buffer_load_dwordx4 a[68:71], v48, s[84:87], 0 offen offset:1024// 0000000039B0: E05C1400 80954430
	v_mfma_f32_16x16x32_fp8_fp8 v[88:91], a[92:93], a[4:5], v[88:91]// 0000000039B8: D3F30058 1D62095C
	v_mfma_f32_16x16x32_fp8_fp8 v[88:91], a[94:95], a[6:7], v[88:91]// 0000000039C0: D3F30058 1D620D5E
	ds_read_b128 a[32:35], v2 offset:512                       // 0000000039C8: DBFE0200 20000002
	ds_read_b128 a[36:39], v2 offset:576                       // 0000000039D0: DBFE0240 24000002
	v_mfma_f32_16x16x32_fp8_fp8 v[80:83], a[80:81], a[8:9], v[80:83]// 0000000039D8: D3F30050 1D421150
	v_mfma_f32_16x16x32_fp8_fp8 v[80:83], a[82:83], a[10:11], v[80:83]// 0000000039E0: D3F30050 1D421552
	buffer_load_dwordx4 a[72:75], v49, s[84:87], 0 offen       // 0000000039E8: E05C1000 80954831
	v_mfma_f32_16x16x32_fp8_fp8 v[80:83], a[84:85], a[12:13], v[80:83]// 0000000039F0: D3F30050 1D421954
	v_mfma_f32_16x16x32_fp8_fp8 v[80:83], a[86:87], a[14:15], v[80:83]// 0000000039F8: D3F30050 1D421D56
	ds_read_b128 a[40:43], v2 offset:1024                      // 000000003A00: DBFE0400 28000002
	ds_read_b128 a[44:47], v2 offset:1088                      // 000000003A08: DBFE0440 2C000002
	v_mfma_f32_16x16x32_fp8_fp8 v[92:95], a[88:89], a[8:9], v[92:95]// 000000003A10: D3F3005C 1D721158
	v_mfma_f32_16x16x32_fp8_fp8 v[92:95], a[90:91], a[10:11], v[92:95]// 000000003A18: D3F3005C 1D72155A
	buffer_load_dwordx4 a[76:79], v49, s[84:87], 0 offen offset:1024// 000000003A20: E05C1400 80954C31
	v_mfma_f32_16x16x32_fp8_fp8 v[92:95], a[92:93], a[12:13], v[92:95]// 000000003A28: D3F3005C 1D72195C
	v_mfma_f32_16x16x32_fp8_fp8 v[92:95], a[94:95], a[14:15], v[92:95]// 000000003A30: D3F3005C 1D721D5E
	v_mfma_f32_16x16x32_fp8_fp8 v[84:87], a[80:81], a[16:17], v[84:87]// 000000003A38: D3F30054 1D522150
	s_add_u32 s60, 0x180, s80                                  // 000000003A40: 803C50FF 00000180
	s_cmp_lt_u32 s60, s81                                      // 000000003A48: BF0A513C
	s_cselect_b32 s57, s57, 0                                  // 000000003A4C: 85398039
	v_mfma_f32_16x16x32_fp8_fp8 v[84:87], a[82:83], a[18:19], v[84:87]// 000000003A50: D3F30054 1D522552
	s_add_u32 s60, 0x100, s80                                  // 000000003A58: 803C50FF 00000100
	s_cmp_lt_u32 s60, s81                                      // 000000003A60: BF0A513C
	s_cselect_b32 s58, s58, 0                                  // 000000003A64: 853A803A
	v_mfma_f32_16x16x32_fp8_fp8 v[84:87], a[84:85], a[20:21], v[84:87]// 000000003A68: D3F30054 1D522954
	s_add_u32 s60, 0x100, s80                                  // 000000003A70: 803C50FF 00000100
	s_cmp_lt_u32 s60, s81                                      // 000000003A78: BF0A513C
	s_cselect_b32 s83, s83, 0                                  // 000000003A7C: 85538053
	v_mfma_f32_16x16x32_fp8_fp8 v[84:87], a[86:87], a[22:23], v[84:87]// 000000003A80: D3F30054 1D522D56
	s_add_u32 s24, s58, s24                                    // 000000003A88: 8018183A
	s_addc_u32 s25, 0, s25                                     // 000000003A8C: 82191980
	v_mfma_f32_16x16x32_fp8_fp8 v[96:99], a[88:89], a[16:17], v[96:99]// 000000003A90: D3F30060 1D822158
	s_add_u32 s20, s57, s20                                    // 000000003A98: 80141439
	s_addc_u32 s21, 0, s21                                     // 000000003A9C: 82151580
	v_mfma_f32_16x16x32_fp8_fp8 v[96:99], a[90:91], a[18:19], v[96:99]// 000000003AA0: D3F30060 1D82255A
	s_add_u32 s84, s83, s84                                    // 000000003AA8: 80545453
	s_addc_u32 s85, 0, s85                                     // 000000003AAC: 82555580
	v_mfma_f32_16x16x32_fp8_fp8 v[96:99], a[92:93], a[20:21], v[96:99]// 000000003AB0: D3F30060 1D82295C
	v_mfma_f32_16x16x32_fp8_fp8 v[96:99], a[94:95], a[22:23], v[96:99]// 000000003AB8: D3F30060 1D822D5E
	s_addk_i32 s80, 0x80                                       // 000000003AC0: B7500080
	s_cmp_lt_i32 s80, s81                                      // 000000003AC4: BF045150
	s_cbranch_scc0 label_0635                                  // 000000003AC8: BF840202
	s_waitcnt vmcnt(10) lgkmcnt(0)                             // 000000003ACC: BF8C007A
	v_mfma_f32_16x16x32_fp8_fp8 v[52:55], a[48:49], a[24:25], v[52:55]// 000000003AD0: D3F30034 1CD23130
	v_mfma_f32_16x16x32_fp8_fp8 v[52:55], a[50:51], a[26:27], v[52:55]// 000000003AD8: D3F30034 1CD23532
	buffer_load_dwordx4 a[80:83], v48, s[24:27], 0 offen       // 000000003AE0: E05C1000 80865030
	v_mfma_f32_16x16x32_fp8_fp8 v[52:55], a[52:53], a[28:29], v[52:55]// 000000003AE8: D3F30034 1CD23934
	v_mfma_f32_16x16x32_fp8_fp8 v[52:55], a[54:55], a[30:31], v[52:55]// 000000003AF0: D3F30034 1CD23D36
	v_mfma_f32_16x16x32_fp8_fp8 v[64:67], a[56:57], a[24:25], v[64:67]// 000000003AF8: D3F30040 1D023138
	v_mfma_f32_16x16x32_fp8_fp8 v[64:67], a[58:59], a[26:27], v[64:67]// 000000003B00: D3F30040 1D02353A
	buffer_load_dwordx4 a[84:87], v48, s[24:27], 0 offen offset:1024// 000000003B08: E05C1400 80865430
	v_mfma_f32_16x16x32_fp8_fp8 v[64:67], a[60:61], a[28:29], v[64:67]// 000000003B10: D3F30040 1D02393C
	v_mfma_f32_16x16x32_fp8_fp8 v[64:67], a[62:63], a[30:31], v[64:67]// 000000003B18: D3F30040 1D023D3E
	v_mfma_f32_16x16x32_fp8_fp8 v[56:59], a[48:49], a[32:33], v[56:59]// 000000003B20: D3F30038 1CE24130
	v_mfma_f32_16x16x32_fp8_fp8 v[56:59], a[50:51], a[34:35], v[56:59]// 000000003B28: D3F30038 1CE24532
	buffer_load_dwordx4 a[88:91], v49, s[24:27], 0 offen       // 000000003B30: E05C1000 80865831
	v_mfma_f32_16x16x32_fp8_fp8 v[56:59], a[52:53], a[36:37], v[56:59]// 000000003B38: D3F30038 1CE24934
	v_mfma_f32_16x16x32_fp8_fp8 v[56:59], a[54:55], a[38:39], v[56:59]// 000000003B40: D3F30038 1CE24D36
	v_mfma_f32_16x16x32_fp8_fp8 v[68:71], a[56:57], a[32:33], v[68:71]// 000000003B48: D3F30044 1D124138
	v_mfma_f32_16x16x32_fp8_fp8 v[68:71], a[58:59], a[34:35], v[68:71]// 000000003B50: D3F30044 1D12453A
	buffer_load_dwordx4 a[92:95], v49, s[24:27], 0 offen offset:1024// 000000003B58: E05C1400 80865C31
	buffer_load_dword v42, s[20:23], 0 offen lds               // 000000003B60: E0511000 8005002A
	s_add_u32 m0, 0x100, s50                                   // 000000003B68: 807C32FF 00000100
	v_mfma_f32_16x16x32_fp8_fp8 v[68:71], a[60:61], a[36:37], v[68:71]// 000000003B70: D3F30044 1D12493C
	v_mfma_f32_16x16x32_fp8_fp8 v[68:71], a[62:63], a[38:39], v[68:71]// 000000003B78: D3F30044 1D124D3E
	buffer_load_dword v43, s[20:23], 0 offen lds               // 000000003B80: E0511000 8005002B
	s_add_u32 m0, 0x200, s50                                   // 000000003B88: 807C32FF 00000200
	v_mfma_f32_16x16x32_fp8_fp8 v[60:63], a[48:49], a[40:41], v[60:63]// 000000003B90: D3F3003C 1CF25130
	v_mfma_f32_16x16x32_fp8_fp8 v[60:63], a[50:51], a[42:43], v[60:63]// 000000003B98: D3F3003C 1CF25532
	buffer_load_dword v44, s[20:23], 0 offen lds               // 000000003BA0: E0511000 8005002C
	s_add_u32 m0, 0x300, s50                                   // 000000003BA8: 807C32FF 00000300
	v_mfma_f32_16x16x32_fp8_fp8 v[60:63], a[52:53], a[44:45], v[60:63]// 000000003BB0: D3F3003C 1CF25934
	v_mfma_f32_16x16x32_fp8_fp8 v[60:63], a[54:55], a[46:47], v[60:63]// 000000003BB8: D3F3003C 1CF25D36
	buffer_load_dword v45, s[20:23], 0 offen lds               // 000000003BC0: E0511000 8005002D
	s_add_u32 m0, 0x400, s50                                   // 000000003BC8: 807C32FF 00000400
	v_mfma_f32_16x16x32_fp8_fp8 v[72:75], a[56:57], a[40:41], v[72:75]// 000000003BD0: D3F30048 1D225138
	v_mfma_f32_16x16x32_fp8_fp8 v[72:75], a[58:59], a[42:43], v[72:75]// 000000003BD8: D3F30048 1D22553A
	buffer_load_dword v46, s[20:23], 0 offen lds               // 000000003BE0: E0511000 8005002E
	s_add_u32 m0, 0x500, s50                                   // 000000003BE8: 807C32FF 00000500
	v_mfma_f32_16x16x32_fp8_fp8 v[72:75], a[60:61], a[44:45], v[72:75]// 000000003BF0: D3F30048 1D22593C
	v_mfma_f32_16x16x32_fp8_fp8 v[72:75], a[62:63], a[46:47], v[72:75]// 000000003BF8: D3F30048 1D225D3E
	buffer_load_dword v47, s[20:23], 0 offen lds               // 000000003C00: E0511000 8005002F
	s_add_u32 m0, 0, s48                                       // 000000003C08: 807C3080
	s_waitcnt vmcnt(10)                                        // 000000003C0C: BF8C0F7A
	s_barrier                                                  // 000000003C10: BF8A0000
	v_mfma_f32_16x16x32_fp8_fp8 v[76:79], a[64:65], a[24:25], v[76:79]// 000000003C14: D3F3004C 1D323140
	v_mfma_f32_16x16x32_fp8_fp8 v[76:79], a[66:67], a[26:27], v[76:79]// 000000003C1C: D3F3004C 1D323542
	buffer_load_dwordx4 a[48:51], v48, s[84:87], 0 offen       // 000000003C24: E05C1000 80953030
	v_mfma_f32_16x16x32_fp8_fp8 v[76:79], a[68:69], a[28:29], v[76:79]// 000000003C2C: D3F3004C 1D323944
	v_mfma_f32_16x16x32_fp8_fp8 v[76:79], a[70:71], a[30:31], v[76:79]// 000000003C34: D3F3004C 1D323D46
	ds_read_b128 a[0:3], v2 offset:6272                        // 000000003C3C: DBFE1880 00000002
	ds_read_b128 a[4:7], v2 offset:6336                        // 000000003C44: DBFE18C0 04000002
	v_mfma_f32_16x16x32_fp8_fp8 v[88:91], a[72:73], a[24:25], v[88:91]// 000000003C4C: D3F30058 1D623148
	v_mfma_f32_16x16x32_fp8_fp8 v[88:91], a[74:75], a[26:27], v[88:91]// 000000003C54: D3F30058 1D62354A
	buffer_load_dwordx4 a[52:55], v48, s[84:87], 0 offen offset:1024// 000000003C5C: E05C1400 80953430
	v_mfma_f32_16x16x32_fp8_fp8 v[88:91], a[76:77], a[28:29], v[88:91]// 000000003C64: D3F30058 1D62394C
	v_mfma_f32_16x16x32_fp8_fp8 v[88:91], a[78:79], a[30:31], v[88:91]// 000000003C6C: D3F30058 1D623D4E
	ds_read_b128 a[8:11], v2 offset:6784                       // 000000003C74: DBFE1A80 08000002
	ds_read_b128 a[12:15], v2 offset:6848                      // 000000003C7C: DBFE1AC0 0C000002
	v_mfma_f32_16x16x32_fp8_fp8 v[80:83], a[64:65], a[32:33], v[80:83]// 000000003C84: D3F30050 1D424140
	v_mfma_f32_16x16x32_fp8_fp8 v[80:83], a[66:67], a[34:35], v[80:83]// 000000003C8C: D3F30050 1D424542
	buffer_load_dwordx4 a[56:59], v49, s[84:87], 0 offen       // 000000003C94: E05C1000 80953831
	v_mfma_f32_16x16x32_fp8_fp8 v[80:83], a[68:69], a[36:37], v[80:83]// 000000003C9C: D3F30050 1D424944
	v_mfma_f32_16x16x32_fp8_fp8 v[80:83], a[70:71], a[38:39], v[80:83]// 000000003CA4: D3F30050 1D424D46
	ds_read_b128 a[16:19], v2 offset:7296                      // 000000003CAC: DBFE1C80 10000002
	ds_read_b128 a[20:23], v2 offset:7360                      // 000000003CB4: DBFE1CC0 14000002
	v_mfma_f32_16x16x32_fp8_fp8 v[92:95], a[72:73], a[32:33], v[92:95]// 000000003CBC: D3F3005C 1D724148
	v_mfma_f32_16x16x32_fp8_fp8 v[92:95], a[74:75], a[34:35], v[92:95]// 000000003CC4: D3F3005C 1D72454A
	buffer_load_dwordx4 a[60:63], v49, s[84:87], 0 offen offset:1024// 000000003CCC: E05C1400 80953C31
	v_mfma_f32_16x16x32_fp8_fp8 v[92:95], a[76:77], a[36:37], v[92:95]// 000000003CD4: D3F3005C 1D72494C
	v_mfma_f32_16x16x32_fp8_fp8 v[92:95], a[78:79], a[38:39], v[92:95]// 000000003CDC: D3F3005C 1D724D4E
	v_mfma_f32_16x16x32_fp8_fp8 v[84:87], a[64:65], a[40:41], v[84:87]// 000000003CE4: D3F30054 1D525140
	s_add_u32 s60, 0x180, s80                                  // 000000003CEC: 803C50FF 00000180
	s_cmp_lt_u32 s60, s81                                      // 000000003CF4: BF0A513C
	s_cselect_b32 s57, s57, 0                                  // 000000003CF8: 85398039
	v_mfma_f32_16x16x32_fp8_fp8 v[84:87], a[66:67], a[42:43], v[84:87]// 000000003CFC: D3F30054 1D525542
	s_add_u32 s60, 0x100, s80                                  // 000000003D04: 803C50FF 00000100
	s_cmp_lt_u32 s60, s81                                      // 000000003D0C: BF0A513C
	s_cselect_b32 s58, s58, 0                                  // 000000003D10: 853A803A
	v_mfma_f32_16x16x32_fp8_fp8 v[84:87], a[68:69], a[44:45], v[84:87]// 000000003D14: D3F30054 1D525944
	s_add_u32 s60, 0x100, s80                                  // 000000003D1C: 803C50FF 00000100
	s_cmp_lt_u32 s60, s81                                      // 000000003D24: BF0A513C
	s_cselect_b32 s83, s83, 0                                  // 000000003D28: 85538053
	v_mfma_f32_16x16x32_fp8_fp8 v[84:87], a[70:71], a[46:47], v[84:87]// 000000003D2C: D3F30054 1D525D46
	s_add_u32 s24, s58, s24                                    // 000000003D34: 8018183A
	s_addc_u32 s25, 0, s25                                     // 000000003D38: 82191980
	v_mfma_f32_16x16x32_fp8_fp8 v[96:99], a[72:73], a[40:41], v[96:99]// 000000003D3C: D3F30060 1D825148
	s_add_u32 s20, s57, s20                                    // 000000003D44: 80141439
	s_addc_u32 s21, 0, s21                                     // 000000003D48: 82151580
	v_mfma_f32_16x16x32_fp8_fp8 v[96:99], a[74:75], a[42:43], v[96:99]// 000000003D4C: D3F30060 1D82554A
	s_add_u32 s84, s83, s84                                    // 000000003D54: 80545453
	s_addc_u32 s85, 0, s85                                     // 000000003D58: 82555580
	v_mfma_f32_16x16x32_fp8_fp8 v[96:99], a[76:77], a[44:45], v[96:99]// 000000003D5C: D3F30060 1D82594C
	v_mfma_f32_16x16x32_fp8_fp8 v[96:99], a[78:79], a[46:47], v[96:99]// 000000003D64: D3F30060 1D825D4E
	s_addk_i32 s80, 0x80                                       // 000000003D6C: B7500080
	s_cmp_lt_i32 s80, s81                                      // 000000003D70: BF045150
	s_cbranch_scc0 label_0635                                  // 000000003D74: BF840157
	s_waitcnt vmcnt(10) lgkmcnt(0)                             // 000000003D78: BF8C007A
	v_mfma_f32_16x16x32_fp8_fp8 v[52:55], a[80:81], a[0:1], v[52:55]// 000000003D7C: D3F30034 1CD20150
	v_mfma_f32_16x16x32_fp8_fp8 v[52:55], a[82:83], a[2:3], v[52:55]// 000000003D84: D3F30034 1CD20552
	buffer_load_dwordx4 a[64:67], v48, s[24:27], 0 offen       // 000000003D8C: E05C1000 80864030
	v_mfma_f32_16x16x32_fp8_fp8 v[52:55], a[84:85], a[4:5], v[52:55]// 000000003D94: D3F30034 1CD20954
	v_mfma_f32_16x16x32_fp8_fp8 v[52:55], a[86:87], a[6:7], v[52:55]// 000000003D9C: D3F30034 1CD20D56
	v_mfma_f32_16x16x32_fp8_fp8 v[64:67], a[88:89], a[0:1], v[64:67]// 000000003DA4: D3F30040 1D020158
	v_mfma_f32_16x16x32_fp8_fp8 v[64:67], a[90:91], a[2:3], v[64:67]// 000000003DAC: D3F30040 1D02055A
	buffer_load_dwordx4 a[68:71], v48, s[24:27], 0 offen offset:1024// 000000003DB4: E05C1400 80864430
	v_mfma_f32_16x16x32_fp8_fp8 v[64:67], a[92:93], a[4:5], v[64:67]// 000000003DBC: D3F30040 1D02095C
	v_mfma_f32_16x16x32_fp8_fp8 v[64:67], a[94:95], a[6:7], v[64:67]// 000000003DC4: D3F30040 1D020D5E
	v_mfma_f32_16x16x32_fp8_fp8 v[56:59], a[80:81], a[8:9], v[56:59]// 000000003DCC: D3F30038 1CE21150
	v_mfma_f32_16x16x32_fp8_fp8 v[56:59], a[82:83], a[10:11], v[56:59]// 000000003DD4: D3F30038 1CE21552
	buffer_load_dwordx4 a[72:75], v49, s[24:27], 0 offen       // 000000003DDC: E05C1000 80864831
	v_mfma_f32_16x16x32_fp8_fp8 v[56:59], a[84:85], a[12:13], v[56:59]// 000000003DE4: D3F30038 1CE21954
	v_mfma_f32_16x16x32_fp8_fp8 v[56:59], a[86:87], a[14:15], v[56:59]// 000000003DEC: D3F30038 1CE21D56
	v_mfma_f32_16x16x32_fp8_fp8 v[68:71], a[88:89], a[8:9], v[68:71]// 000000003DF4: D3F30044 1D121158
	v_mfma_f32_16x16x32_fp8_fp8 v[68:71], a[90:91], a[10:11], v[68:71]// 000000003DFC: D3F30044 1D12155A
	buffer_load_dwordx4 a[76:79], v49, s[24:27], 0 offen offset:1024// 000000003E04: E05C1400 80864C31
	buffer_load_dword v42, s[20:23], 0 offen lds               // 000000003E0C: E0511000 8005002A
	s_add_u32 m0, 0x100, s48                                   // 000000003E14: 807C30FF 00000100
	v_mfma_f32_16x16x32_fp8_fp8 v[68:71], a[92:93], a[12:13], v[68:71]// 000000003E1C: D3F30044 1D12195C
	v_mfma_f32_16x16x32_fp8_fp8 v[68:71], a[94:95], a[14:15], v[68:71]// 000000003E24: D3F30044 1D121D5E
	buffer_load_dword v43, s[20:23], 0 offen lds               // 000000003E2C: E0511000 8005002B
	s_add_u32 m0, 0x200, s48                                   // 000000003E34: 807C30FF 00000200
	v_mfma_f32_16x16x32_fp8_fp8 v[60:63], a[80:81], a[16:17], v[60:63]// 000000003E3C: D3F3003C 1CF22150
	v_mfma_f32_16x16x32_fp8_fp8 v[60:63], a[82:83], a[18:19], v[60:63]// 000000003E44: D3F3003C 1CF22552
	buffer_load_dword v44, s[20:23], 0 offen lds               // 000000003E4C: E0511000 8005002C
	s_add_u32 m0, 0x300, s48                                   // 000000003E54: 807C30FF 00000300
	v_mfma_f32_16x16x32_fp8_fp8 v[60:63], a[84:85], a[20:21], v[60:63]// 000000003E5C: D3F3003C 1CF22954
	v_mfma_f32_16x16x32_fp8_fp8 v[60:63], a[86:87], a[22:23], v[60:63]// 000000003E64: D3F3003C 1CF22D56
	buffer_load_dword v45, s[20:23], 0 offen lds               // 000000003E6C: E0511000 8005002D
	s_add_u32 m0, 0x400, s48                                   // 000000003E74: 807C30FF 00000400
	v_mfma_f32_16x16x32_fp8_fp8 v[72:75], a[88:89], a[16:17], v[72:75]// 000000003E7C: D3F30048 1D222158
	v_mfma_f32_16x16x32_fp8_fp8 v[72:75], a[90:91], a[18:19], v[72:75]// 000000003E84: D3F30048 1D22255A
	buffer_load_dword v46, s[20:23], 0 offen lds               // 000000003E8C: E0511000 8005002E
	s_add_u32 m0, 0x500, s48                                   // 000000003E94: 807C30FF 00000500
	v_mfma_f32_16x16x32_fp8_fp8 v[72:75], a[92:93], a[20:21], v[72:75]// 000000003E9C: D3F30048 1D22295C
	v_mfma_f32_16x16x32_fp8_fp8 v[72:75], a[94:95], a[22:23], v[72:75]// 000000003EA4: D3F30048 1D222D5E
	buffer_load_dword v47, s[20:23], 0 offen lds               // 000000003EAC: E0511000 8005002F
	s_add_u32 m0, 0, s49                                       // 000000003EB4: 807C3180
	s_waitcnt vmcnt(10)                                        // 000000003EB8: BF8C0F7A
	s_barrier                                                  // 000000003EBC: BF8A0000
	v_mfma_f32_16x16x32_fp8_fp8 v[76:79], a[48:49], a[0:1], v[76:79]// 000000003EC0: D3F3004C 1D320130
	v_mfma_f32_16x16x32_fp8_fp8 v[76:79], a[50:51], a[2:3], v[76:79]// 000000003EC8: D3F3004C 1D320532
	buffer_load_dwordx4 a[80:83], v48, s[84:87], 0 offen       // 000000003ED0: E05C1000 80955030
	v_mfma_f32_16x16x32_fp8_fp8 v[76:79], a[52:53], a[4:5], v[76:79]// 000000003ED8: D3F3004C 1D320934
	v_mfma_f32_16x16x32_fp8_fp8 v[76:79], a[54:55], a[6:7], v[76:79]// 000000003EE0: D3F3004C 1D320D36
	ds_read_b128 a[24:27], v2 offset:12544                     // 000000003EE8: DBFE3100 18000002
	ds_read_b128 a[28:31], v2 offset:12608                     // 000000003EF0: DBFE3140 1C000002
	v_mfma_f32_16x16x32_fp8_fp8 v[88:91], a[56:57], a[0:1], v[88:91]// 000000003EF8: D3F30058 1D620138
	v_mfma_f32_16x16x32_fp8_fp8 v[88:91], a[58:59], a[2:3], v[88:91]// 000000003F00: D3F30058 1D62053A
	buffer_load_dwordx4 a[84:87], v48, s[84:87], 0 offen offset:1024// 000000003F08: E05C1400 80955430
	v_mfma_f32_16x16x32_fp8_fp8 v[88:91], a[60:61], a[4:5], v[88:91]// 000000003F10: D3F30058 1D62093C
	v_mfma_f32_16x16x32_fp8_fp8 v[88:91], a[62:63], a[6:7], v[88:91]// 000000003F18: D3F30058 1D620D3E
	ds_read_b128 a[32:35], v2 offset:13056                     // 000000003F20: DBFE3300 20000002
	ds_read_b128 a[36:39], v2 offset:13120                     // 000000003F28: DBFE3340 24000002
	v_mfma_f32_16x16x32_fp8_fp8 v[80:83], a[48:49], a[8:9], v[80:83]// 000000003F30: D3F30050 1D421130
	v_mfma_f32_16x16x32_fp8_fp8 v[80:83], a[50:51], a[10:11], v[80:83]// 000000003F38: D3F30050 1D421532
	buffer_load_dwordx4 a[88:91], v49, s[84:87], 0 offen       // 000000003F40: E05C1000 80955831
	v_mfma_f32_16x16x32_fp8_fp8 v[80:83], a[52:53], a[12:13], v[80:83]// 000000003F48: D3F30050 1D421934
	v_mfma_f32_16x16x32_fp8_fp8 v[80:83], a[54:55], a[14:15], v[80:83]// 000000003F50: D3F30050 1D421D36
	ds_read_b128 a[40:43], v2 offset:13568                     // 000000003F58: DBFE3500 28000002
	ds_read_b128 a[44:47], v2 offset:13632                     // 000000003F60: DBFE3540 2C000002
	v_mfma_f32_16x16x32_fp8_fp8 v[92:95], a[56:57], a[8:9], v[92:95]// 000000003F68: D3F3005C 1D721138
	v_mfma_f32_16x16x32_fp8_fp8 v[92:95], a[58:59], a[10:11], v[92:95]// 000000003F70: D3F3005C 1D72153A
	buffer_load_dwordx4 a[92:95], v49, s[84:87], 0 offen offset:1024// 000000003F78: E05C1400 80955C31
	v_mfma_f32_16x16x32_fp8_fp8 v[92:95], a[60:61], a[12:13], v[92:95]// 000000003F80: D3F3005C 1D72193C
	v_mfma_f32_16x16x32_fp8_fp8 v[92:95], a[62:63], a[14:15], v[92:95]// 000000003F88: D3F3005C 1D721D3E
	v_mfma_f32_16x16x32_fp8_fp8 v[84:87], a[48:49], a[16:17], v[84:87]// 000000003F90: D3F30054 1D522130
	s_add_u32 s60, 0x180, s80                                  // 000000003F98: 803C50FF 00000180
	s_cmp_lt_u32 s60, s81                                      // 000000003FA0: BF0A513C
	s_cselect_b32 s57, s57, 0                                  // 000000003FA4: 85398039
	v_mfma_f32_16x16x32_fp8_fp8 v[84:87], a[50:51], a[18:19], v[84:87]// 000000003FA8: D3F30054 1D522532
	s_add_u32 s60, 0x100, s80                                  // 000000003FB0: 803C50FF 00000100
	s_cmp_lt_u32 s60, s81                                      // 000000003FB8: BF0A513C
	s_cselect_b32 s58, s58, 0                                  // 000000003FBC: 853A803A
	v_mfma_f32_16x16x32_fp8_fp8 v[84:87], a[52:53], a[20:21], v[84:87]// 000000003FC0: D3F30054 1D522934
	s_add_u32 s60, 0x100, s80                                  // 000000003FC8: 803C50FF 00000100
	s_cmp_lt_u32 s60, s81                                      // 000000003FD0: BF0A513C
	s_cselect_b32 s83, s83, 0                                  // 000000003FD4: 85538053
	v_mfma_f32_16x16x32_fp8_fp8 v[84:87], a[54:55], a[22:23], v[84:87]// 000000003FD8: D3F30054 1D522D36
	s_add_u32 s24, s58, s24                                    // 000000003FE0: 8018183A
	s_addc_u32 s25, 0, s25                                     // 000000003FE4: 82191980
	v_mfma_f32_16x16x32_fp8_fp8 v[96:99], a[56:57], a[16:17], v[96:99]// 000000003FE8: D3F30060 1D822138
	s_add_u32 s20, s57, s20                                    // 000000003FF0: 80141439
	s_addc_u32 s21, 0, s21                                     // 000000003FF4: 82151580
	v_mfma_f32_16x16x32_fp8_fp8 v[96:99], a[58:59], a[18:19], v[96:99]// 000000003FF8: D3F30060 1D82253A
	s_add_u32 s84, s83, s84                                    // 000000004000: 80545453
	s_addc_u32 s85, 0, s85                                     // 000000004004: 82555580
	v_mfma_f32_16x16x32_fp8_fp8 v[96:99], a[60:61], a[20:21], v[96:99]// 000000004008: D3F30060 1D82293C
	v_mfma_f32_16x16x32_fp8_fp8 v[96:99], a[62:63], a[22:23], v[96:99]// 000000004010: D3F30060 1D822D3E
	s_addk_i32 s80, 0x80                                       // 000000004018: B7500080
	s_cmp_lt_i32 s80, s81                                      // 00000000401C: BF045150
	s_cbranch_scc0 label_0635                                  // 000000004020: BF8400AC
	s_waitcnt vmcnt(10) lgkmcnt(0)                             // 000000004024: BF8C007A
	v_mfma_f32_16x16x32_fp8_fp8 v[52:55], a[64:65], a[24:25], v[52:55]// 000000004028: D3F30034 1CD23140
	v_mfma_f32_16x16x32_fp8_fp8 v[52:55], a[66:67], a[26:27], v[52:55]// 000000004030: D3F30034 1CD23542
	buffer_load_dwordx4 a[48:51], v48, s[24:27], 0 offen       // 000000004038: E05C1000 80863030
	v_mfma_f32_16x16x32_fp8_fp8 v[52:55], a[68:69], a[28:29], v[52:55]// 000000004040: D3F30034 1CD23944
	v_mfma_f32_16x16x32_fp8_fp8 v[52:55], a[70:71], a[30:31], v[52:55]// 000000004048: D3F30034 1CD23D46
	v_mfma_f32_16x16x32_fp8_fp8 v[64:67], a[72:73], a[24:25], v[64:67]// 000000004050: D3F30040 1D023148
	v_mfma_f32_16x16x32_fp8_fp8 v[64:67], a[74:75], a[26:27], v[64:67]// 000000004058: D3F30040 1D02354A
	buffer_load_dwordx4 a[52:55], v48, s[24:27], 0 offen offset:1024// 000000004060: E05C1400 80863430
	v_mfma_f32_16x16x32_fp8_fp8 v[64:67], a[76:77], a[28:29], v[64:67]// 000000004068: D3F30040 1D02394C
	v_mfma_f32_16x16x32_fp8_fp8 v[64:67], a[78:79], a[30:31], v[64:67]// 000000004070: D3F30040 1D023D4E
	v_mfma_f32_16x16x32_fp8_fp8 v[56:59], a[64:65], a[32:33], v[56:59]// 000000004078: D3F30038 1CE24140
	v_mfma_f32_16x16x32_fp8_fp8 v[56:59], a[66:67], a[34:35], v[56:59]// 000000004080: D3F30038 1CE24542
	buffer_load_dwordx4 a[56:59], v49, s[24:27], 0 offen       // 000000004088: E05C1000 80863831
	v_mfma_f32_16x16x32_fp8_fp8 v[56:59], a[68:69], a[36:37], v[56:59]// 000000004090: D3F30038 1CE24944
	v_mfma_f32_16x16x32_fp8_fp8 v[56:59], a[70:71], a[38:39], v[56:59]// 000000004098: D3F30038 1CE24D46
	v_mfma_f32_16x16x32_fp8_fp8 v[68:71], a[72:73], a[32:33], v[68:71]// 0000000040A0: D3F30044 1D124148
	v_mfma_f32_16x16x32_fp8_fp8 v[68:71], a[74:75], a[34:35], v[68:71]// 0000000040A8: D3F30044 1D12454A
	buffer_load_dwordx4 a[60:63], v49, s[24:27], 0 offen offset:1024// 0000000040B0: E05C1400 80863C31
	buffer_load_dword v42, s[20:23], 0 offen lds               // 0000000040B8: E0511000 8005002A
	s_add_u32 m0, 0x100, s49                                   // 0000000040C0: 807C31FF 00000100
	v_mfma_f32_16x16x32_fp8_fp8 v[68:71], a[76:77], a[36:37], v[68:71]// 0000000040C8: D3F30044 1D12494C
	v_mfma_f32_16x16x32_fp8_fp8 v[68:71], a[78:79], a[38:39], v[68:71]// 0000000040D0: D3F30044 1D124D4E
	buffer_load_dword v43, s[20:23], 0 offen lds               // 0000000040D8: E0511000 8005002B
	s_add_u32 m0, 0x200, s49                                   // 0000000040E0: 807C31FF 00000200
	v_mfma_f32_16x16x32_fp8_fp8 v[60:63], a[64:65], a[40:41], v[60:63]// 0000000040E8: D3F3003C 1CF25140
	v_mfma_f32_16x16x32_fp8_fp8 v[60:63], a[66:67], a[42:43], v[60:63]// 0000000040F0: D3F3003C 1CF25542
	buffer_load_dword v44, s[20:23], 0 offen lds               // 0000000040F8: E0511000 8005002C
	s_add_u32 m0, 0x300, s49                                   // 000000004100: 807C31FF 00000300
	v_mfma_f32_16x16x32_fp8_fp8 v[60:63], a[68:69], a[44:45], v[60:63]// 000000004108: D3F3003C 1CF25944
	v_mfma_f32_16x16x32_fp8_fp8 v[60:63], a[70:71], a[46:47], v[60:63]// 000000004110: D3F3003C 1CF25D46
	buffer_load_dword v45, s[20:23], 0 offen lds               // 000000004118: E0511000 8005002D
	s_add_u32 m0, 0x400, s49                                   // 000000004120: 807C31FF 00000400
	v_mfma_f32_16x16x32_fp8_fp8 v[72:75], a[72:73], a[40:41], v[72:75]// 000000004128: D3F30048 1D225148
	v_mfma_f32_16x16x32_fp8_fp8 v[72:75], a[74:75], a[42:43], v[72:75]// 000000004130: D3F30048 1D22554A
	buffer_load_dword v46, s[20:23], 0 offen lds               // 000000004138: E0511000 8005002E
	s_add_u32 m0, 0x500, s49                                   // 000000004140: 807C31FF 00000500
	v_mfma_f32_16x16x32_fp8_fp8 v[72:75], a[76:77], a[44:45], v[72:75]// 000000004148: D3F30048 1D22594C
	v_mfma_f32_16x16x32_fp8_fp8 v[72:75], a[78:79], a[46:47], v[72:75]// 000000004150: D3F30048 1D225D4E
	buffer_load_dword v47, s[20:23], 0 offen lds               // 000000004158: E0511000 8005002F
	s_add_u32 m0, 0, s50                                       // 000000004160: 807C3280
	s_waitcnt vmcnt(10)                                        // 000000004164: BF8C0F7A
	s_barrier                                                  // 000000004168: BF8A0000
	v_mfma_f32_16x16x32_fp8_fp8 v[76:79], a[80:81], a[24:25], v[76:79]// 00000000416C: D3F3004C 1D323150
	v_mfma_f32_16x16x32_fp8_fp8 v[76:79], a[82:83], a[26:27], v[76:79]// 000000004174: D3F3004C 1D323552
	buffer_load_dwordx4 a[64:67], v48, s[84:87], 0 offen       // 00000000417C: E05C1000 80954030
	v_mfma_f32_16x16x32_fp8_fp8 v[76:79], a[84:85], a[28:29], v[76:79]// 000000004184: D3F3004C 1D323954
	v_mfma_f32_16x16x32_fp8_fp8 v[76:79], a[86:87], a[30:31], v[76:79]// 00000000418C: D3F3004C 1D323D56
	ds_read_b128 a[0:3], v2                                    // 000000004194: DBFE0000 00000002
	ds_read_b128 a[4:7], v2 offset:64                          // 00000000419C: DBFE0040 04000002
	v_mfma_f32_16x16x32_fp8_fp8 v[88:91], a[88:89], a[24:25], v[88:91]// 0000000041A4: D3F30058 1D623158
	v_mfma_f32_16x16x32_fp8_fp8 v[88:91], a[90:91], a[26:27], v[88:91]// 0000000041AC: D3F30058 1D62355A
	buffer_load_dwordx4 a[68:71], v48, s[84:87], 0 offen offset:1024// 0000000041B4: E05C1400 80954430
	v_mfma_f32_16x16x32_fp8_fp8 v[88:91], a[92:93], a[28:29], v[88:91]// 0000000041BC: D3F30058 1D62395C
	v_mfma_f32_16x16x32_fp8_fp8 v[88:91], a[94:95], a[30:31], v[88:91]// 0000000041C4: D3F30058 1D623D5E
	ds_read_b128 a[8:11], v2 offset:512                        // 0000000041CC: DBFE0200 08000002
	ds_read_b128 a[12:15], v2 offset:576                       // 0000000041D4: DBFE0240 0C000002
	v_mfma_f32_16x16x32_fp8_fp8 v[80:83], a[80:81], a[32:33], v[80:83]// 0000000041DC: D3F30050 1D424150
	v_mfma_f32_16x16x32_fp8_fp8 v[80:83], a[82:83], a[34:35], v[80:83]// 0000000041E4: D3F30050 1D424552
	buffer_load_dwordx4 a[72:75], v49, s[84:87], 0 offen       // 0000000041EC: E05C1000 80954831
	v_mfma_f32_16x16x32_fp8_fp8 v[80:83], a[84:85], a[36:37], v[80:83]// 0000000041F4: D3F30050 1D424954
	v_mfma_f32_16x16x32_fp8_fp8 v[80:83], a[86:87], a[38:39], v[80:83]// 0000000041FC: D3F30050 1D424D56
	ds_read_b128 a[16:19], v2 offset:1024                      // 000000004204: DBFE0400 10000002
	ds_read_b128 a[20:23], v2 offset:1088                      // 00000000420C: DBFE0440 14000002
	v_mfma_f32_16x16x32_fp8_fp8 v[92:95], a[88:89], a[32:33], v[92:95]// 000000004214: D3F3005C 1D724158
	v_mfma_f32_16x16x32_fp8_fp8 v[92:95], a[90:91], a[34:35], v[92:95]// 00000000421C: D3F3005C 1D72455A
	buffer_load_dwordx4 a[76:79], v49, s[84:87], 0 offen offset:1024// 000000004224: E05C1400 80954C31
	v_mfma_f32_16x16x32_fp8_fp8 v[92:95], a[92:93], a[36:37], v[92:95]// 00000000422C: D3F3005C 1D72495C
	v_mfma_f32_16x16x32_fp8_fp8 v[92:95], a[94:95], a[38:39], v[92:95]// 000000004234: D3F3005C 1D724D5E
	v_mfma_f32_16x16x32_fp8_fp8 v[84:87], a[80:81], a[40:41], v[84:87]// 00000000423C: D3F30054 1D525150
	s_add_u32 s60, 0x180, s80                                  // 000000004244: 803C50FF 00000180
	s_cmp_lt_u32 s60, s81                                      // 00000000424C: BF0A513C
	s_cselect_b32 s57, s57, 0                                  // 000000004250: 85398039
	v_mfma_f32_16x16x32_fp8_fp8 v[84:87], a[82:83], a[42:43], v[84:87]// 000000004254: D3F30054 1D525552
	s_add_u32 s60, 0x100, s80                                  // 00000000425C: 803C50FF 00000100
	s_cmp_lt_u32 s60, s81                                      // 000000004264: BF0A513C
	s_cselect_b32 s58, s58, 0                                  // 000000004268: 853A803A
	v_mfma_f32_16x16x32_fp8_fp8 v[84:87], a[84:85], a[44:45], v[84:87]// 00000000426C: D3F30054 1D525954
	s_add_u32 s60, 0x100, s80                                  // 000000004274: 803C50FF 00000100
	s_cmp_lt_u32 s60, s81                                      // 00000000427C: BF0A513C
	s_cselect_b32 s83, s83, 0                                  // 000000004280: 85538053
	v_mfma_f32_16x16x32_fp8_fp8 v[84:87], a[86:87], a[46:47], v[84:87]// 000000004284: D3F30054 1D525D56
	s_add_u32 s24, s58, s24                                    // 00000000428C: 8018183A
	s_addc_u32 s25, 0, s25                                     // 000000004290: 82191980
	v_mfma_f32_16x16x32_fp8_fp8 v[96:99], a[88:89], a[40:41], v[96:99]// 000000004294: D3F30060 1D825158
	s_add_u32 s20, s57, s20                                    // 00000000429C: 80141439
	s_addc_u32 s21, 0, s21                                     // 0000000042A0: 82151580
	v_mfma_f32_16x16x32_fp8_fp8 v[96:99], a[90:91], a[42:43], v[96:99]// 0000000042A4: D3F30060 1D82555A
	s_add_u32 s84, s83, s84                                    // 0000000042AC: 80545453
	s_addc_u32 s85, 0, s85                                     // 0000000042B0: 82555580
	v_mfma_f32_16x16x32_fp8_fp8 v[96:99], a[92:93], a[44:45], v[96:99]// 0000000042B4: D3F30060 1D82595C
	v_mfma_f32_16x16x32_fp8_fp8 v[96:99], a[94:95], a[46:47], v[96:99]// 0000000042BC: D3F30060 1D825D5E
	s_addk_i32 s80, 0x80                                       // 0000000042C4: B7500080
	s_cmp_lt_i32 s80, s81                                      // 0000000042C8: BF045150
	s_cbranch_scc0 label_0635                                  // 0000000042CC: BF840001
	s_branch label_0232                                        // 0000000042D0: BF82FBFD

00000000000042d4 <label_0635>:
	v_mul_f32_dpp v52, v24, v52 row_newbcast:0 row_mask:0xf bank_mask:0xf// 0000000042D4: 0A6868FA FF015018
	v_mul_f32_dpp v53, v24, v53 row_newbcast:1 row_mask:0xf bank_mask:0xf// 0000000042DC: 0A6A6AFA FF015118
	v_mul_f32_dpp v54, v24, v54 row_newbcast:2 row_mask:0xf bank_mask:0xf// 0000000042E4: 0A6C6CFA FF015218
	v_mul_f32_dpp v55, v24, v55 row_newbcast:3 row_mask:0xf bank_mask:0xf// 0000000042EC: 0A6E6EFA FF015318
	v_mul_f32_dpp v56, v24, v56 row_newbcast:0 row_mask:0xf bank_mask:0xf// 0000000042F4: 0A7070FA FF015018
	v_mul_f32_dpp v57, v24, v57 row_newbcast:1 row_mask:0xf bank_mask:0xf// 0000000042FC: 0A7272FA FF015118
	v_mul_f32_dpp v58, v24, v58 row_newbcast:2 row_mask:0xf bank_mask:0xf// 000000004304: 0A7474FA FF015218
	v_mul_f32_dpp v59, v24, v59 row_newbcast:3 row_mask:0xf bank_mask:0xf// 00000000430C: 0A7676FA FF015318
	v_mul_f32_dpp v60, v24, v60 row_newbcast:0 row_mask:0xf bank_mask:0xf// 000000004314: 0A7878FA FF015018
	v_mul_f32_dpp v61, v24, v61 row_newbcast:1 row_mask:0xf bank_mask:0xf// 00000000431C: 0A7A7AFA FF015118
	v_mul_f32_dpp v62, v24, v62 row_newbcast:2 row_mask:0xf bank_mask:0xf// 000000004324: 0A7C7CFA FF015218
	v_mul_f32_dpp v63, v24, v63 row_newbcast:3 row_mask:0xf bank_mask:0xf// 00000000432C: 0A7E7EFA FF015318
	v_mul_f32_dpp v64, v24, v64 row_newbcast:4 row_mask:0xf bank_mask:0xf// 000000004334: 0A8080FA FF015418
	v_mul_f32_dpp v65, v24, v65 row_newbcast:5 row_mask:0xf bank_mask:0xf// 00000000433C: 0A8282FA FF015518
	v_mul_f32_dpp v66, v24, v66 row_newbcast:6 row_mask:0xf bank_mask:0xf// 000000004344: 0A8484FA FF015618
	v_mul_f32_dpp v67, v24, v67 row_newbcast:7 row_mask:0xf bank_mask:0xf// 00000000434C: 0A8686FA FF015718
	v_mul_f32_dpp v68, v24, v68 row_newbcast:4 row_mask:0xf bank_mask:0xf// 000000004354: 0A8888FA FF015418
	v_mul_f32_dpp v69, v24, v69 row_newbcast:5 row_mask:0xf bank_mask:0xf// 00000000435C: 0A8A8AFA FF015518
	v_mul_f32_dpp v70, v24, v70 row_newbcast:6 row_mask:0xf bank_mask:0xf// 000000004364: 0A8C8CFA FF015618
	v_mul_f32_dpp v71, v24, v71 row_newbcast:7 row_mask:0xf bank_mask:0xf// 00000000436C: 0A8E8EFA FF015718
	v_mul_f32_dpp v72, v24, v72 row_newbcast:4 row_mask:0xf bank_mask:0xf// 000000004374: 0A9090FA FF015418
	v_mul_f32_dpp v73, v24, v73 row_newbcast:5 row_mask:0xf bank_mask:0xf// 00000000437C: 0A9292FA FF015518
	v_mul_f32_dpp v74, v24, v74 row_newbcast:6 row_mask:0xf bank_mask:0xf// 000000004384: 0A9494FA FF015618
	v_mul_f32_dpp v75, v24, v75 row_newbcast:7 row_mask:0xf bank_mask:0xf// 00000000438C: 0A9696FA FF015718
	v_mul_f32_dpp v76, v27, v76 row_newbcast:0 row_mask:0xf bank_mask:0xf// 000000004394: 0A9898FA FF01501B
	v_mul_f32_dpp v77, v27, v77 row_newbcast:1 row_mask:0xf bank_mask:0xf// 00000000439C: 0A9A9AFA FF01511B
	v_mul_f32_dpp v78, v27, v78 row_newbcast:2 row_mask:0xf bank_mask:0xf// 0000000043A4: 0A9C9CFA FF01521B
	v_mul_f32_dpp v79, v27, v79 row_newbcast:3 row_mask:0xf bank_mask:0xf// 0000000043AC: 0A9E9EFA FF01531B
	v_mul_f32_dpp v80, v27, v80 row_newbcast:0 row_mask:0xf bank_mask:0xf// 0000000043B4: 0AA0A0FA FF01501B
	v_mul_f32_dpp v81, v27, v81 row_newbcast:1 row_mask:0xf bank_mask:0xf// 0000000043BC: 0AA2A2FA FF01511B
	v_mul_f32_dpp v82, v27, v82 row_newbcast:2 row_mask:0xf bank_mask:0xf// 0000000043C4: 0AA4A4FA FF01521B
	v_mul_f32_dpp v83, v27, v83 row_newbcast:3 row_mask:0xf bank_mask:0xf// 0000000043CC: 0AA6A6FA FF01531B
	v_mul_f32_dpp v84, v27, v84 row_newbcast:0 row_mask:0xf bank_mask:0xf// 0000000043D4: 0AA8A8FA FF01501B
	v_mul_f32_dpp v85, v27, v85 row_newbcast:1 row_mask:0xf bank_mask:0xf// 0000000043DC: 0AAAAAFA FF01511B
	v_mul_f32_dpp v86, v27, v86 row_newbcast:2 row_mask:0xf bank_mask:0xf// 0000000043E4: 0AACACFA FF01521B
	v_mul_f32_dpp v87, v27, v87 row_newbcast:3 row_mask:0xf bank_mask:0xf// 0000000043EC: 0AAEAEFA FF01531B
	v_mul_f32_dpp v88, v27, v88 row_newbcast:4 row_mask:0xf bank_mask:0xf// 0000000043F4: 0AB0B0FA FF01541B
	v_mul_f32_dpp v89, v27, v89 row_newbcast:5 row_mask:0xf bank_mask:0xf// 0000000043FC: 0AB2B2FA FF01551B
	v_mul_f32_dpp v90, v27, v90 row_newbcast:6 row_mask:0xf bank_mask:0xf// 000000004404: 0AB4B4FA FF01561B
	v_mul_f32_dpp v91, v27, v91 row_newbcast:7 row_mask:0xf bank_mask:0xf// 00000000440C: 0AB6B6FA FF01571B
	v_mul_f32_dpp v92, v27, v92 row_newbcast:4 row_mask:0xf bank_mask:0xf// 000000004414: 0AB8B8FA FF01541B
	v_mul_f32_dpp v93, v27, v93 row_newbcast:5 row_mask:0xf bank_mask:0xf// 00000000441C: 0ABABAFA FF01551B
	v_mul_f32_dpp v94, v27, v94 row_newbcast:6 row_mask:0xf bank_mask:0xf// 000000004424: 0ABCBCFA FF01561B
	v_mul_f32_dpp v95, v27, v95 row_newbcast:7 row_mask:0xf bank_mask:0xf// 00000000442C: 0ABEBEFA FF01571B
	v_mul_f32_dpp v96, v27, v96 row_newbcast:4 row_mask:0xf bank_mask:0xf// 000000004434: 0AC0C0FA FF01541B
	v_mul_f32_dpp v97, v27, v97 row_newbcast:5 row_mask:0xf bank_mask:0xf// 00000000443C: 0AC2C2FA FF01551B
	v_mul_f32_dpp v98, v27, v98 row_newbcast:6 row_mask:0xf bank_mask:0xf// 000000004444: 0AC4C4FA FF01561B
	v_mul_f32_dpp v99, v27, v99 row_newbcast:7 row_mask:0xf bank_mask:0xf// 00000000444C: 0AC6C6FA FF01571B
	v_mul_f32_e32 v33, v33, v100                               // 000000004454: 0A42C921
	v_mov_b32_e32 v4, v33                                      // 000000004458: 7E080321
	v_mov_b32_e32 v5, v4                                       // 00000000445C: 7E0A0304
	v_pk_mul_f32 v[52:53], v[4:5], v[52:53]                    // 000000004460: D3B14034 18026904
	v_pk_mul_f32 v[76:77], v[4:5], v[76:77]                    // 000000004468: D3B1404C 18029904
	v_pk_mul_f32 v[54:55], v[4:5], v[54:55]                    // 000000004470: D3B14036 18026D04
	v_pk_mul_f32 v[78:79], v[4:5], v[78:79]                    // 000000004478: D3B1404E 18029D04
	v_pk_mul_f32 v[64:65], v[4:5], v[64:65]                    // 000000004480: D3B14040 18028104
	v_pk_mul_f32 v[88:89], v[4:5], v[88:89]                    // 000000004488: D3B14058 1802B104
	v_pk_mul_f32 v[66:67], v[4:5], v[66:67]                    // 000000004490: D3B14042 18028504
	v_pk_mul_f32 v[90:91], v[4:5], v[90:91]                    // 000000004498: D3B1405A 1802B504
	v_mul_f32_e32 v34, v34, v101                               // 0000000044A0: 0A44CB22
	v_mov_b32_e32 v4, v34                                      // 0000000044A4: 7E080322
	v_mov_b32_e32 v5, v4                                       // 0000000044A8: 7E0A0304
	v_pk_mul_f32 v[56:57], v[4:5], v[56:57]                    // 0000000044AC: D3B14038 18027104
	v_pk_mul_f32 v[80:81], v[4:5], v[80:81]                    // 0000000044B4: D3B14050 1802A104
	v_pk_mul_f32 v[58:59], v[4:5], v[58:59]                    // 0000000044BC: D3B1403A 18027504
	v_pk_mul_f32 v[82:83], v[4:5], v[82:83]                    // 0000000044C4: D3B14052 1802A504
	v_pk_mul_f32 v[68:69], v[4:5], v[68:69]                    // 0000000044CC: D3B14044 18028904
	v_pk_mul_f32 v[92:93], v[4:5], v[92:93]                    // 0000000044D4: D3B1405C 1802B904
	v_pk_mul_f32 v[70:71], v[4:5], v[70:71]                    // 0000000044DC: D3B14046 18028D04
	v_pk_mul_f32 v[94:95], v[4:5], v[94:95]                    // 0000000044E4: D3B1405E 1802BD04
	v_mul_f32_e32 v35, v35, v102                               // 0000000044EC: 0A46CD23
	v_mov_b32_e32 v4, v35                                      // 0000000044F0: 7E080323
	v_mov_b32_e32 v5, v4                                       // 0000000044F4: 7E0A0304
	v_pk_mul_f32 v[60:61], v[4:5], v[60:61]                    // 0000000044F8: D3B1403C 18027904
	v_pk_mul_f32 v[84:85], v[4:5], v[84:85]                    // 000000004500: D3B14054 1802A904
	v_pk_mul_f32 v[62:63], v[4:5], v[62:63]                    // 000000004508: D3B1403E 18027D04
	v_pk_mul_f32 v[86:87], v[4:5], v[86:87]                    // 000000004510: D3B14056 1802AD04
	v_pk_mul_f32 v[72:73], v[4:5], v[72:73]                    // 000000004518: D3B14048 18029104
	v_pk_mul_f32 v[96:97], v[4:5], v[96:97]                    // 000000004520: D3B14060 1802C104
	v_pk_mul_f32 v[74:75], v[4:5], v[74:75]                    // 000000004528: D3B1404A 18029504
	v_pk_mul_f32 v[98:99], v[4:5], v[98:99]                    // 000000004530: D3B14062 1802C504
	s_cmp_eq_u32 s88, 0                                        // 000000004538: BF068058
	s_cbranch_scc0 label_0A69                                  // 00000000453C: BF840399
	s_cmp_eq_u32 s89, 0                                        // 000000004540: BF068059
	s_cbranch_scc1 label_07C7                                  // 000000004544: BF8500F5
	v_mov_b32_e32 v8, v1                                       // 000000004548: 7E100301
	v_mov_b32_e32 v9, v1                                       // 00000000454C: 7E120301
	s_mov_b32 s60, s6                                          // 000000004550: BEBC0006
	s_mov_b32 s61, s6                                          // 000000004554: BEBD0006
	v_pk_mul_f32 v[4:5], v[52:53], v[52:53]                    // 000000004558: D3B14004 18026934
	v_pk_mul_f32 v[6:7], v[54:55], v[54:55]                    // 000000004560: D3B14006 18026D36
	v_pk_fma_f32 v[4:5], v[4:5], s[78:79], v[8:9]              // 000000004568: D3B04004 1C209D04
	v_pk_fma_f32 v[6:7], v[6:7], s[78:79], v[8:9]              // 000000004570: D3B04006 1C209D06
	v_pk_mul_f32 v[4:5], v[4:5], v[52:53]                      // 000000004578: D3B14004 18026904
	v_pk_mul_f32 v[6:7], v[6:7], v[54:55]                      // 000000004580: D3B14006 18026D06
	v_pk_mul_f32 v[4:5], v[4:5], s[60:61]                      // 000000004588: D3B14004 18007904
	v_pk_mul_f32 v[6:7], v[6:7], s[60:61]                      // 000000004590: D3B14006 18007906
	v_exp_f32_e32 v4, v4                                       // 000000004598: 7E084104
	v_exp_f32_e32 v5, v5                                       // 00000000459C: 7E0A4105
	v_exp_f32_e32 v6, v6                                       // 0000000045A0: 7E0C4106
	v_exp_f32_e32 v7, v7                                       // 0000000045A4: 7E0E4107
	v_add_f32_e64 v4, v4, 1.0                                  // 0000000045A8: D1010004 0001E504
	v_add_f32_e64 v5, v5, 1.0                                  // 0000000045B0: D1010005 0001E505
	v_add_f32_e64 v6, v6, 1.0                                  // 0000000045B8: D1010006 0001E506
	v_add_f32_e64 v7, v7, 1.0                                  // 0000000045C0: D1010007 0001E507
	v_rcp_f32_e32 v4, v4                                       // 0000000045C8: 7E084504
	v_rcp_f32_e32 v5, v5                                       // 0000000045CC: 7E0A4505
	v_rcp_f32_e32 v6, v6                                       // 0000000045D0: 7E0C4506
	v_rcp_f32_e32 v7, v7                                       // 0000000045D4: 7E0E4507
	v_mul_f32_e32 v52, v52, v4                                 // 0000000045D8: 0A680934
	v_mul_f32_e32 v53, v53, v5                                 // 0000000045DC: 0A6A0B35
	v_mul_f32_e32 v54, v54, v6                                 // 0000000045E0: 0A6C0D36
	v_mul_f32_e32 v55, v55, v7                                 // 0000000045E4: 0A6E0F37
	v_mul_f32_e32 v52, v52, v76                                // 0000000045E8: 0A689934
	v_mul_f32_e32 v53, v53, v77                                // 0000000045EC: 0A6A9B35
	v_mul_f32_e32 v54, v54, v78                                // 0000000045F0: 0A6C9D36
	v_mul_f32_e32 v55, v55, v79                                // 0000000045F4: 0A6E9F37
	v_pk_mul_f32 v[4:5], v[56:57], v[56:57]                    // 0000000045F8: D3B14004 18027138
	v_pk_mul_f32 v[6:7], v[58:59], v[58:59]                    // 000000004600: D3B14006 1802753A
	v_pk_fma_f32 v[4:5], v[4:5], s[78:79], v[8:9]              // 000000004608: D3B04004 1C209D04
	v_pk_fma_f32 v[6:7], v[6:7], s[78:79], v[8:9]              // 000000004610: D3B04006 1C209D06
	v_pk_mul_f32 v[4:5], v[4:5], v[56:57]                      // 000000004618: D3B14004 18027104
	v_pk_mul_f32 v[6:7], v[6:7], v[58:59]                      // 000000004620: D3B14006 18027506
	v_pk_mul_f32 v[4:5], v[4:5], s[60:61]                      // 000000004628: D3B14004 18007904
	v_pk_mul_f32 v[6:7], v[6:7], s[60:61]                      // 000000004630: D3B14006 18007906
	v_exp_f32_e32 v4, v4                                       // 000000004638: 7E084104
	v_exp_f32_e32 v5, v5                                       // 00000000463C: 7E0A4105
	v_exp_f32_e32 v6, v6                                       // 000000004640: 7E0C4106
	v_exp_f32_e32 v7, v7                                       // 000000004644: 7E0E4107
	v_add_f32_e64 v4, v4, 1.0                                  // 000000004648: D1010004 0001E504
	v_add_f32_e64 v5, v5, 1.0                                  // 000000004650: D1010005 0001E505
	v_add_f32_e64 v6, v6, 1.0                                  // 000000004658: D1010006 0001E506
	v_add_f32_e64 v7, v7, 1.0                                  // 000000004660: D1010007 0001E507
	v_rcp_f32_e32 v4, v4                                       // 000000004668: 7E084504
	v_rcp_f32_e32 v5, v5                                       // 00000000466C: 7E0A4505
	v_rcp_f32_e32 v6, v6                                       // 000000004670: 7E0C4506
	v_rcp_f32_e32 v7, v7                                       // 000000004674: 7E0E4507
	v_mul_f32_e32 v56, v56, v4                                 // 000000004678: 0A700938
	v_mul_f32_e32 v57, v57, v5                                 // 00000000467C: 0A720B39
	v_mul_f32_e32 v58, v58, v6                                 // 000000004680: 0A740D3A
	v_mul_f32_e32 v59, v59, v7                                 // 000000004684: 0A760F3B
	v_mul_f32_e32 v56, v56, v80                                // 000000004688: 0A70A138
	v_mul_f32_e32 v57, v57, v81                                // 00000000468C: 0A72A339
	v_mul_f32_e32 v58, v58, v82                                // 000000004690: 0A74A53A
	v_mul_f32_e32 v59, v59, v83                                // 000000004694: 0A76A73B
	v_pk_mul_f32 v[4:5], v[60:61], v[60:61]                    // 000000004698: D3B14004 1802793C
	v_pk_mul_f32 v[6:7], v[62:63], v[62:63]                    // 0000000046A0: D3B14006 18027D3E
	v_pk_fma_f32 v[4:5], v[4:5], s[78:79], v[8:9]              // 0000000046A8: D3B04004 1C209D04
	v_pk_fma_f32 v[6:7], v[6:7], s[78:79], v[8:9]              // 0000000046B0: D3B04006 1C209D06
	v_pk_mul_f32 v[4:5], v[4:5], v[60:61]                      // 0000000046B8: D3B14004 18027904
	v_pk_mul_f32 v[6:7], v[6:7], v[62:63]                      // 0000000046C0: D3B14006 18027D06
	v_pk_mul_f32 v[4:5], v[4:5], s[60:61]                      // 0000000046C8: D3B14004 18007904
	v_pk_mul_f32 v[6:7], v[6:7], s[60:61]                      // 0000000046D0: D3B14006 18007906
	v_exp_f32_e32 v4, v4                                       // 0000000046D8: 7E084104
	v_exp_f32_e32 v5, v5                                       // 0000000046DC: 7E0A4105
	v_exp_f32_e32 v6, v6                                       // 0000000046E0: 7E0C4106
	v_exp_f32_e32 v7, v7                                       // 0000000046E4: 7E0E4107
	v_add_f32_e64 v4, v4, 1.0                                  // 0000000046E8: D1010004 0001E504
	v_add_f32_e64 v5, v5, 1.0                                  // 0000000046F0: D1010005 0001E505
	v_add_f32_e64 v6, v6, 1.0                                  // 0000000046F8: D1010006 0001E506
	v_add_f32_e64 v7, v7, 1.0                                  // 000000004700: D1010007 0001E507
	v_rcp_f32_e32 v4, v4                                       // 000000004708: 7E084504
	v_rcp_f32_e32 v5, v5                                       // 00000000470C: 7E0A4505
	v_rcp_f32_e32 v6, v6                                       // 000000004710: 7E0C4506
	v_rcp_f32_e32 v7, v7                                       // 000000004714: 7E0E4507
	v_mul_f32_e32 v60, v60, v4                                 // 000000004718: 0A78093C
	v_mul_f32_e32 v61, v61, v5                                 // 00000000471C: 0A7A0B3D
	v_mul_f32_e32 v62, v62, v6                                 // 000000004720: 0A7C0D3E
	v_mul_f32_e32 v63, v63, v7                                 // 000000004724: 0A7E0F3F
	v_mul_f32_e32 v60, v60, v84                                // 000000004728: 0A78A93C
	v_mul_f32_e32 v61, v61, v85                                // 00000000472C: 0A7AAB3D
	v_mul_f32_e32 v62, v62, v86                                // 000000004730: 0A7CAD3E
	v_mul_f32_e32 v63, v63, v87                                // 000000004734: 0A7EAF3F
	v_pk_mul_f32 v[4:5], v[64:65], v[64:65]                    // 000000004738: D3B14004 18028140
	v_pk_mul_f32 v[6:7], v[66:67], v[66:67]                    // 000000004740: D3B14006 18028542
	v_pk_fma_f32 v[4:5], v[4:5], s[78:79], v[8:9]              // 000000004748: D3B04004 1C209D04
	v_pk_fma_f32 v[6:7], v[6:7], s[78:79], v[8:9]              // 000000004750: D3B04006 1C209D06
	v_pk_mul_f32 v[4:5], v[4:5], v[64:65]                      // 000000004758: D3B14004 18028104
	v_pk_mul_f32 v[6:7], v[6:7], v[66:67]                      // 000000004760: D3B14006 18028506
	v_pk_mul_f32 v[4:5], v[4:5], s[60:61]                      // 000000004768: D3B14004 18007904
	v_pk_mul_f32 v[6:7], v[6:7], s[60:61]                      // 000000004770: D3B14006 18007906
	v_exp_f32_e32 v4, v4                                       // 000000004778: 7E084104
	v_exp_f32_e32 v5, v5                                       // 00000000477C: 7E0A4105
	v_exp_f32_e32 v6, v6                                       // 000000004780: 7E0C4106
	v_exp_f32_e32 v7, v7                                       // 000000004784: 7E0E4107
	v_add_f32_e64 v4, v4, 1.0                                  // 000000004788: D1010004 0001E504
	v_add_f32_e64 v5, v5, 1.0                                  // 000000004790: D1010005 0001E505
	v_add_f32_e64 v6, v6, 1.0                                  // 000000004798: D1010006 0001E506
	v_add_f32_e64 v7, v7, 1.0                                  // 0000000047A0: D1010007 0001E507
	v_rcp_f32_e32 v4, v4                                       // 0000000047A8: 7E084504
	v_rcp_f32_e32 v5, v5                                       // 0000000047AC: 7E0A4505
	v_rcp_f32_e32 v6, v6                                       // 0000000047B0: 7E0C4506
	v_rcp_f32_e32 v7, v7                                       // 0000000047B4: 7E0E4507
	v_mul_f32_e32 v64, v64, v4                                 // 0000000047B8: 0A800940
	v_mul_f32_e32 v65, v65, v5                                 // 0000000047BC: 0A820B41
	v_mul_f32_e32 v66, v66, v6                                 // 0000000047C0: 0A840D42
	v_mul_f32_e32 v67, v67, v7                                 // 0000000047C4: 0A860F43
	v_mul_f32_e32 v64, v64, v88                                // 0000000047C8: 0A80B140
	v_mul_f32_e32 v65, v65, v89                                // 0000000047CC: 0A82B341
	v_mul_f32_e32 v66, v66, v90                                // 0000000047D0: 0A84B542
	v_mul_f32_e32 v67, v67, v91                                // 0000000047D4: 0A86B743
	v_pk_mul_f32 v[4:5], v[68:69], v[68:69]                    // 0000000047D8: D3B14004 18028944
	v_pk_mul_f32 v[6:7], v[70:71], v[70:71]                    // 0000000047E0: D3B14006 18028D46
	v_pk_fma_f32 v[4:5], v[4:5], s[78:79], v[8:9]              // 0000000047E8: D3B04004 1C209D04
	v_pk_fma_f32 v[6:7], v[6:7], s[78:79], v[8:9]              // 0000000047F0: D3B04006 1C209D06
	v_pk_mul_f32 v[4:5], v[4:5], v[68:69]                      // 0000000047F8: D3B14004 18028904
	v_pk_mul_f32 v[6:7], v[6:7], v[70:71]                      // 000000004800: D3B14006 18028D06
	v_pk_mul_f32 v[4:5], v[4:5], s[60:61]                      // 000000004808: D3B14004 18007904
	v_pk_mul_f32 v[6:7], v[6:7], s[60:61]                      // 000000004810: D3B14006 18007906
	v_exp_f32_e32 v4, v4                                       // 000000004818: 7E084104
	v_exp_f32_e32 v5, v5                                       // 00000000481C: 7E0A4105
	v_exp_f32_e32 v6, v6                                       // 000000004820: 7E0C4106
	v_exp_f32_e32 v7, v7                                       // 000000004824: 7E0E4107
	v_add_f32_e64 v4, v4, 1.0                                  // 000000004828: D1010004 0001E504
	v_add_f32_e64 v5, v5, 1.0                                  // 000000004830: D1010005 0001E505
	v_add_f32_e64 v6, v6, 1.0                                  // 000000004838: D1010006 0001E506
	v_add_f32_e64 v7, v7, 1.0                                  // 000000004840: D1010007 0001E507
	v_rcp_f32_e32 v4, v4                                       // 000000004848: 7E084504
	v_rcp_f32_e32 v5, v5                                       // 00000000484C: 7E0A4505
	v_rcp_f32_e32 v6, v6                                       // 000000004850: 7E0C4506
	v_rcp_f32_e32 v7, v7                                       // 000000004854: 7E0E4507
	v_mul_f32_e32 v68, v68, v4                                 // 000000004858: 0A880944
	v_mul_f32_e32 v69, v69, v5                                 // 00000000485C: 0A8A0B45
	v_mul_f32_e32 v70, v70, v6                                 // 000000004860: 0A8C0D46
	v_mul_f32_e32 v71, v71, v7                                 // 000000004864: 0A8E0F47
	v_mul_f32_e32 v68, v68, v92                                // 000000004868: 0A88B944
	v_mul_f32_e32 v69, v69, v93                                // 00000000486C: 0A8ABB45
	v_mul_f32_e32 v70, v70, v94                                // 000000004870: 0A8CBD46
	v_mul_f32_e32 v71, v71, v95                                // 000000004874: 0A8EBF47
	v_pk_mul_f32 v[4:5], v[72:73], v[72:73]                    // 000000004878: D3B14004 18029148
	v_pk_mul_f32 v[6:7], v[74:75], v[74:75]                    // 000000004880: D3B14006 1802954A
	v_pk_fma_f32 v[4:5], v[4:5], s[78:79], v[8:9]              // 000000004888: D3B04004 1C209D04
	v_pk_fma_f32 v[6:7], v[6:7], s[78:79], v[8:9]              // 000000004890: D3B04006 1C209D06
	v_pk_mul_f32 v[4:5], v[4:5], v[72:73]                      // 000000004898: D3B14004 18029104
	v_pk_mul_f32 v[6:7], v[6:7], v[74:75]                      // 0000000048A0: D3B14006 18029506
	v_pk_mul_f32 v[4:5], v[4:5], s[60:61]                      // 0000000048A8: D3B14004 18007904
	v_pk_mul_f32 v[6:7], v[6:7], s[60:61]                      // 0000000048B0: D3B14006 18007906
	v_exp_f32_e32 v4, v4                                       // 0000000048B8: 7E084104
	v_exp_f32_e32 v5, v5                                       // 0000000048BC: 7E0A4105
	v_exp_f32_e32 v6, v6                                       // 0000000048C0: 7E0C4106
	v_exp_f32_e32 v7, v7                                       // 0000000048C4: 7E0E4107
	v_add_f32_e64 v4, v4, 1.0                                  // 0000000048C8: D1010004 0001E504
	v_add_f32_e64 v5, v5, 1.0                                  // 0000000048D0: D1010005 0001E505
	v_add_f32_e64 v6, v6, 1.0                                  // 0000000048D8: D1010006 0001E506
	v_add_f32_e64 v7, v7, 1.0                                  // 0000000048E0: D1010007 0001E507
	v_rcp_f32_e32 v4, v4                                       // 0000000048E8: 7E084504
	v_rcp_f32_e32 v5, v5                                       // 0000000048EC: 7E0A4505
	v_rcp_f32_e32 v6, v6                                       // 0000000048F0: 7E0C4506
	v_rcp_f32_e32 v7, v7                                       // 0000000048F4: 7E0E4507
	v_mul_f32_e32 v72, v72, v4                                 // 0000000048F8: 0A900948
	v_mul_f32_e32 v73, v73, v5                                 // 0000000048FC: 0A920B49
	v_mul_f32_e32 v74, v74, v6                                 // 000000004900: 0A940D4A
	v_mul_f32_e32 v75, v75, v7                                 // 000000004904: 0A960F4B
	v_mul_f32_e32 v72, v72, v96                                // 000000004908: 0A90C148
	v_mul_f32_e32 v73, v73, v97                                // 00000000490C: 0A92C349
	v_mul_f32_e32 v74, v74, v98                                // 000000004910: 0A94C54A
	v_mul_f32_e32 v75, v75, v99                                // 000000004914: 0A96C74B
	s_branch label_0887                                        // 000000004918: BF8200C0

000000000000491c <label_07C7>:
	v_mul_f32_e64 v4, -v52, s6                                 // 00000000491C: D1050004 20000D34
	v_mul_f32_e64 v5, -v53, s6                                 // 000000004924: D1050005 20000D35
	v_mul_f32_e64 v6, -v54, s6                                 // 00000000492C: D1050006 20000D36
	v_mul_f32_e64 v7, -v55, s6                                 // 000000004934: D1050007 20000D37
	v_exp_f32_e32 v4, v4                                       // 00000000493C: 7E084104
	v_exp_f32_e32 v5, v5                                       // 000000004940: 7E0A4105
	v_exp_f32_e32 v6, v6                                       // 000000004944: 7E0C4106
	v_exp_f32_e32 v7, v7                                       // 000000004948: 7E0E4107
	v_add_f32_e64 v4, v4, 1.0                                  // 00000000494C: D1010004 0001E504
	v_add_f32_e64 v5, v5, 1.0                                  // 000000004954: D1010005 0001E505
	v_add_f32_e64 v6, v6, 1.0                                  // 00000000495C: D1010006 0001E506
	v_add_f32_e64 v7, v7, 1.0                                  // 000000004964: D1010007 0001E507
	v_rcp_f32_e32 v4, v4                                       // 00000000496C: 7E084504
	v_rcp_f32_e32 v5, v5                                       // 000000004970: 7E0A4505
	v_rcp_f32_e32 v6, v6                                       // 000000004974: 7E0C4506
	v_rcp_f32_e32 v7, v7                                       // 000000004978: 7E0E4507
	v_mul_f32_e32 v52, v52, v4                                 // 00000000497C: 0A680934
	v_mul_f32_e32 v53, v53, v5                                 // 000000004980: 0A6A0B35
	v_mul_f32_e32 v54, v54, v6                                 // 000000004984: 0A6C0D36
	v_mul_f32_e32 v55, v55, v7                                 // 000000004988: 0A6E0F37
	v_mul_f32_e32 v52, v52, v76                                // 00000000498C: 0A689934
	v_mul_f32_e32 v53, v53, v77                                // 000000004990: 0A6A9B35
	v_mul_f32_e32 v54, v54, v78                                // 000000004994: 0A6C9D36
	v_mul_f32_e32 v55, v55, v79                                // 000000004998: 0A6E9F37
	v_mul_f32_e64 v4, -v56, s6                                 // 00000000499C: D1050004 20000D38
	v_mul_f32_e64 v5, -v57, s6                                 // 0000000049A4: D1050005 20000D39
	v_mul_f32_e64 v6, -v58, s6                                 // 0000000049AC: D1050006 20000D3A
	v_mul_f32_e64 v7, -v59, s6                                 // 0000000049B4: D1050007 20000D3B
	v_exp_f32_e32 v4, v4                                       // 0000000049BC: 7E084104
	v_exp_f32_e32 v5, v5                                       // 0000000049C0: 7E0A4105
	v_exp_f32_e32 v6, v6                                       // 0000000049C4: 7E0C4106
	v_exp_f32_e32 v7, v7                                       // 0000000049C8: 7E0E4107
	v_add_f32_e64 v4, v4, 1.0                                  // 0000000049CC: D1010004 0001E504
	v_add_f32_e64 v5, v5, 1.0                                  // 0000000049D4: D1010005 0001E505
	v_add_f32_e64 v6, v6, 1.0                                  // 0000000049DC: D1010006 0001E506
	v_add_f32_e64 v7, v7, 1.0                                  // 0000000049E4: D1010007 0001E507
	v_rcp_f32_e32 v4, v4                                       // 0000000049EC: 7E084504
	v_rcp_f32_e32 v5, v5                                       // 0000000049F0: 7E0A4505
	v_rcp_f32_e32 v6, v6                                       // 0000000049F4: 7E0C4506
	v_rcp_f32_e32 v7, v7                                       // 0000000049F8: 7E0E4507
	v_mul_f32_e32 v56, v56, v4                                 // 0000000049FC: 0A700938
	v_mul_f32_e32 v57, v57, v5                                 // 000000004A00: 0A720B39
	v_mul_f32_e32 v58, v58, v6                                 // 000000004A04: 0A740D3A
	v_mul_f32_e32 v59, v59, v7                                 // 000000004A08: 0A760F3B
	v_mul_f32_e32 v56, v56, v80                                // 000000004A0C: 0A70A138
	v_mul_f32_e32 v57, v57, v81                                // 000000004A10: 0A72A339
	v_mul_f32_e32 v58, v58, v82                                // 000000004A14: 0A74A53A
	v_mul_f32_e32 v59, v59, v83                                // 000000004A18: 0A76A73B
	v_mul_f32_e64 v4, -v60, s6                                 // 000000004A1C: D1050004 20000D3C
	v_mul_f32_e64 v5, -v61, s6                                 // 000000004A24: D1050005 20000D3D
	v_mul_f32_e64 v6, -v62, s6                                 // 000000004A2C: D1050006 20000D3E
	v_mul_f32_e64 v7, -v63, s6                                 // 000000004A34: D1050007 20000D3F
	v_exp_f32_e32 v4, v4                                       // 000000004A3C: 7E084104
	v_exp_f32_e32 v5, v5                                       // 000000004A40: 7E0A4105
	v_exp_f32_e32 v6, v6                                       // 000000004A44: 7E0C4106
	v_exp_f32_e32 v7, v7                                       // 000000004A48: 7E0E4107
	v_add_f32_e64 v4, v4, 1.0                                  // 000000004A4C: D1010004 0001E504
	v_add_f32_e64 v5, v5, 1.0                                  // 000000004A54: D1010005 0001E505
	v_add_f32_e64 v6, v6, 1.0                                  // 000000004A5C: D1010006 0001E506
	v_add_f32_e64 v7, v7, 1.0                                  // 000000004A64: D1010007 0001E507
	v_rcp_f32_e32 v4, v4                                       // 000000004A6C: 7E084504
	v_rcp_f32_e32 v5, v5                                       // 000000004A70: 7E0A4505
	v_rcp_f32_e32 v6, v6                                       // 000000004A74: 7E0C4506
	v_rcp_f32_e32 v7, v7                                       // 000000004A78: 7E0E4507
	v_mul_f32_e32 v60, v60, v4                                 // 000000004A7C: 0A78093C
	v_mul_f32_e32 v61, v61, v5                                 // 000000004A80: 0A7A0B3D
	v_mul_f32_e32 v62, v62, v6                                 // 000000004A84: 0A7C0D3E
	v_mul_f32_e32 v63, v63, v7                                 // 000000004A88: 0A7E0F3F
	v_mul_f32_e32 v60, v60, v84                                // 000000004A8C: 0A78A93C
	v_mul_f32_e32 v61, v61, v85                                // 000000004A90: 0A7AAB3D
	v_mul_f32_e32 v62, v62, v86                                // 000000004A94: 0A7CAD3E
	v_mul_f32_e32 v63, v63, v87                                // 000000004A98: 0A7EAF3F
	v_mul_f32_e64 v4, -v64, s6                                 // 000000004A9C: D1050004 20000D40
	v_mul_f32_e64 v5, -v65, s6                                 // 000000004AA4: D1050005 20000D41
	v_mul_f32_e64 v6, -v66, s6                                 // 000000004AAC: D1050006 20000D42
	v_mul_f32_e64 v7, -v67, s6                                 // 000000004AB4: D1050007 20000D43
	v_exp_f32_e32 v4, v4                                       // 000000004ABC: 7E084104
	v_exp_f32_e32 v5, v5                                       // 000000004AC0: 7E0A4105
	v_exp_f32_e32 v6, v6                                       // 000000004AC4: 7E0C4106
	v_exp_f32_e32 v7, v7                                       // 000000004AC8: 7E0E4107
	v_add_f32_e64 v4, v4, 1.0                                  // 000000004ACC: D1010004 0001E504
	v_add_f32_e64 v5, v5, 1.0                                  // 000000004AD4: D1010005 0001E505
	v_add_f32_e64 v6, v6, 1.0                                  // 000000004ADC: D1010006 0001E506
	v_add_f32_e64 v7, v7, 1.0                                  // 000000004AE4: D1010007 0001E507
	v_rcp_f32_e32 v4, v4                                       // 000000004AEC: 7E084504
	v_rcp_f32_e32 v5, v5                                       // 000000004AF0: 7E0A4505
	v_rcp_f32_e32 v6, v6                                       // 000000004AF4: 7E0C4506
	v_rcp_f32_e32 v7, v7                                       // 000000004AF8: 7E0E4507
	v_mul_f32_e32 v64, v64, v4                                 // 000000004AFC: 0A800940
	v_mul_f32_e32 v65, v65, v5                                 // 000000004B00: 0A820B41
	v_mul_f32_e32 v66, v66, v6                                 // 000000004B04: 0A840D42
	v_mul_f32_e32 v67, v67, v7                                 // 000000004B08: 0A860F43
	v_mul_f32_e32 v64, v64, v88                                // 000000004B0C: 0A80B140
	v_mul_f32_e32 v65, v65, v89                                // 000000004B10: 0A82B341
	v_mul_f32_e32 v66, v66, v90                                // 000000004B14: 0A84B542
	v_mul_f32_e32 v67, v67, v91                                // 000000004B18: 0A86B743
	v_mul_f32_e64 v4, -v68, s6                                 // 000000004B1C: D1050004 20000D44
	v_mul_f32_e64 v5, -v69, s6                                 // 000000004B24: D1050005 20000D45
	v_mul_f32_e64 v6, -v70, s6                                 // 000000004B2C: D1050006 20000D46
	v_mul_f32_e64 v7, -v71, s6                                 // 000000004B34: D1050007 20000D47
	v_exp_f32_e32 v4, v4                                       // 000000004B3C: 7E084104
	v_exp_f32_e32 v5, v5                                       // 000000004B40: 7E0A4105
	v_exp_f32_e32 v6, v6                                       // 000000004B44: 7E0C4106
	v_exp_f32_e32 v7, v7                                       // 000000004B48: 7E0E4107
	v_add_f32_e64 v4, v4, 1.0                                  // 000000004B4C: D1010004 0001E504
	v_add_f32_e64 v5, v5, 1.0                                  // 000000004B54: D1010005 0001E505
	v_add_f32_e64 v6, v6, 1.0                                  // 000000004B5C: D1010006 0001E506
	v_add_f32_e64 v7, v7, 1.0                                  // 000000004B64: D1010007 0001E507
	v_rcp_f32_e32 v4, v4                                       // 000000004B6C: 7E084504
	v_rcp_f32_e32 v5, v5                                       // 000000004B70: 7E0A4505
	v_rcp_f32_e32 v6, v6                                       // 000000004B74: 7E0C4506
	v_rcp_f32_e32 v7, v7                                       // 000000004B78: 7E0E4507
	v_mul_f32_e32 v68, v68, v4                                 // 000000004B7C: 0A880944
	v_mul_f32_e32 v69, v69, v5                                 // 000000004B80: 0A8A0B45
	v_mul_f32_e32 v70, v70, v6                                 // 000000004B84: 0A8C0D46
	v_mul_f32_e32 v71, v71, v7                                 // 000000004B88: 0A8E0F47
	v_mul_f32_e32 v68, v68, v92                                // 000000004B8C: 0A88B944
	v_mul_f32_e32 v69, v69, v93                                // 000000004B90: 0A8ABB45
	v_mul_f32_e32 v70, v70, v94                                // 000000004B94: 0A8CBD46
	v_mul_f32_e32 v71, v71, v95                                // 000000004B98: 0A8EBF47
	v_mul_f32_e64 v4, -v72, s6                                 // 000000004B9C: D1050004 20000D48
	v_mul_f32_e64 v5, -v73, s6                                 // 000000004BA4: D1050005 20000D49
	v_mul_f32_e64 v6, -v74, s6                                 // 000000004BAC: D1050006 20000D4A
	v_mul_f32_e64 v7, -v75, s6                                 // 000000004BB4: D1050007 20000D4B
	v_exp_f32_e32 v4, v4                                       // 000000004BBC: 7E084104
	v_exp_f32_e32 v5, v5                                       // 000000004BC0: 7E0A4105
	v_exp_f32_e32 v6, v6                                       // 000000004BC4: 7E0C4106
	v_exp_f32_e32 v7, v7                                       // 000000004BC8: 7E0E4107
	v_add_f32_e64 v4, v4, 1.0                                  // 000000004BCC: D1010004 0001E504
	v_add_f32_e64 v5, v5, 1.0                                  // 000000004BD4: D1010005 0001E505
	v_add_f32_e64 v6, v6, 1.0                                  // 000000004BDC: D1010006 0001E506
	v_add_f32_e64 v7, v7, 1.0                                  // 000000004BE4: D1010007 0001E507
	v_rcp_f32_e32 v4, v4                                       // 000000004BEC: 7E084504
	v_rcp_f32_e32 v5, v5                                       // 000000004BF0: 7E0A4505
	v_rcp_f32_e32 v6, v6                                       // 000000004BF4: 7E0C4506
	v_rcp_f32_e32 v7, v7                                       // 000000004BF8: 7E0E4507
	v_mul_f32_e32 v72, v72, v4                                 // 000000004BFC: 0A900948
	v_mul_f32_e32 v73, v73, v5                                 // 000000004C00: 0A920B49
	v_mul_f32_e32 v74, v74, v6                                 // 000000004C04: 0A940D4A
	v_mul_f32_e32 v75, v75, v7                                 // 000000004C08: 0A960F4B
	v_mul_f32_e32 v72, v72, v96                                // 000000004C0C: 0A90C148
	v_mul_f32_e32 v73, v73, v97                                // 000000004C10: 0A92C349
	v_mul_f32_e32 v74, v74, v98                                // 000000004C14: 0A94C54A
	v_mul_f32_e32 v75, v75, v99                                // 000000004C18: 0A96C74B

0000000000004c1c <label_0887>:
	v_cmp_u_f32_e64 s[46:47], v52, v52                         // 000000004C1C: D048002E 00026934
	v_add3_u32 v16, v52, v19, 1                                // 000000004C24: D1FF0010 02062734
	v_cndmask_b32_e64 v4, v16, v18, s[46:47]                   // 000000004C2C: D1000004 00BA2510
	v_cmp_u_f32_e64 s[46:47], v53, v53                         // 000000004C34: D048002E 00026B35
	v_add3_u32 v16, v53, v19, 1                                // 000000004C3C: D1FF0010 02062735
	v_cndmask_b32_e64 v5, v16, v18, s[46:47]                   // 000000004C44: D1000005 00BA2510
	v_perm_b32 v52, v5, v4, s52                                // 000000004C4C: D1ED0034 00D20905
	v_cmp_u_f32_e64 s[46:47], v54, v54                         // 000000004C54: D048002E 00026D36
	v_add3_u32 v16, v54, v19, 1                                // 000000004C5C: D1FF0010 02062736
	v_cndmask_b32_e64 v4, v16, v18, s[46:47]                   // 000000004C64: D1000004 00BA2510
	v_cmp_u_f32_e64 s[46:47], v55, v55                         // 000000004C6C: D048002E 00026F37
	v_add3_u32 v16, v55, v19, 1                                // 000000004C74: D1FF0010 02062737
	v_cndmask_b32_e64 v5, v16, v18, s[46:47]                   // 000000004C7C: D1000005 00BA2510
	v_perm_b32 v53, v5, v4, s52                                // 000000004C84: D1ED0035 00D20905
	v_cmp_u_f32_e64 s[46:47], v56, v56                         // 000000004C8C: D048002E 00027138
	v_add3_u32 v16, v56, v19, 1                                // 000000004C94: D1FF0010 02062738
	v_cndmask_b32_e64 v4, v16, v18, s[46:47]                   // 000000004C9C: D1000004 00BA2510
	v_cmp_u_f32_e64 s[46:47], v57, v57                         // 000000004CA4: D048002E 00027339
	v_add3_u32 v16, v57, v19, 1                                // 000000004CAC: D1FF0010 02062739
	v_cndmask_b32_e64 v5, v16, v18, s[46:47]                   // 000000004CB4: D1000005 00BA2510
	v_perm_b32 v54, v5, v4, s52                                // 000000004CBC: D1ED0036 00D20905
	v_cmp_u_f32_e64 s[46:47], v58, v58                         // 000000004CC4: D048002E 0002753A
	v_add3_u32 v16, v58, v19, 1                                // 000000004CCC: D1FF0010 0206273A
	v_cndmask_b32_e64 v4, v16, v18, s[46:47]                   // 000000004CD4: D1000004 00BA2510
	v_cmp_u_f32_e64 s[46:47], v59, v59                         // 000000004CDC: D048002E 0002773B
	v_add3_u32 v16, v59, v19, 1                                // 000000004CE4: D1FF0010 0206273B
	v_cndmask_b32_e64 v5, v16, v18, s[46:47]                   // 000000004CEC: D1000005 00BA2510
	v_perm_b32 v55, v5, v4, s52                                // 000000004CF4: D1ED0037 00D20905
	v_cmp_u_f32_e64 s[46:47], v60, v60                         // 000000004CFC: D048002E 0002793C
	v_add3_u32 v16, v60, v19, 1                                // 000000004D04: D1FF0010 0206273C
	v_cndmask_b32_e64 v4, v16, v18, s[46:47]                   // 000000004D0C: D1000004 00BA2510
	v_cmp_u_f32_e64 s[46:47], v61, v61                         // 000000004D14: D048002E 00027B3D
	v_add3_u32 v16, v61, v19, 1                                // 000000004D1C: D1FF0010 0206273D
	v_cndmask_b32_e64 v5, v16, v18, s[46:47]                   // 000000004D24: D1000005 00BA2510
	v_perm_b32 v56, v5, v4, s52                                // 000000004D2C: D1ED0038 00D20905
	v_cmp_u_f32_e64 s[46:47], v62, v62                         // 000000004D34: D048002E 00027D3E
	v_add3_u32 v16, v62, v19, 1                                // 000000004D3C: D1FF0010 0206273E
	v_cndmask_b32_e64 v4, v16, v18, s[46:47]                   // 000000004D44: D1000004 00BA2510
	v_cmp_u_f32_e64 s[46:47], v63, v63                         // 000000004D4C: D048002E 00027F3F
	v_add3_u32 v16, v63, v19, 1                                // 000000004D54: D1FF0010 0206273F
	v_cndmask_b32_e64 v5, v16, v18, s[46:47]                   // 000000004D5C: D1000005 00BA2510
	v_perm_b32 v57, v5, v4, s52                                // 000000004D64: D1ED0039 00D20905
	v_cmp_u_f32_e64 s[46:47], v64, v64                         // 000000004D6C: D048002E 00028140
	v_add3_u32 v16, v64, v19, 1                                // 000000004D74: D1FF0010 02062740
	v_cndmask_b32_e64 v4, v16, v18, s[46:47]                   // 000000004D7C: D1000004 00BA2510
	v_cmp_u_f32_e64 s[46:47], v65, v65                         // 000000004D84: D048002E 00028341
	v_add3_u32 v16, v65, v19, 1                                // 000000004D8C: D1FF0010 02062741
	v_cndmask_b32_e64 v5, v16, v18, s[46:47]                   // 000000004D94: D1000005 00BA2510
	v_perm_b32 v58, v5, v4, s52                                // 000000004D9C: D1ED003A 00D20905
	v_cmp_u_f32_e64 s[46:47], v66, v66                         // 000000004DA4: D048002E 00028542
	v_add3_u32 v16, v66, v19, 1                                // 000000004DAC: D1FF0010 02062742
	v_cndmask_b32_e64 v4, v16, v18, s[46:47]                   // 000000004DB4: D1000004 00BA2510
	v_cmp_u_f32_e64 s[46:47], v67, v67                         // 000000004DBC: D048002E 00028743
	v_add3_u32 v16, v67, v19, 1                                // 000000004DC4: D1FF0010 02062743
	v_cndmask_b32_e64 v5, v16, v18, s[46:47]                   // 000000004DCC: D1000005 00BA2510
	v_perm_b32 v59, v5, v4, s52                                // 000000004DD4: D1ED003B 00D20905
	v_cmp_u_f32_e64 s[46:47], v68, v68                         // 000000004DDC: D048002E 00028944
	v_add3_u32 v16, v68, v19, 1                                // 000000004DE4: D1FF0010 02062744
	v_cndmask_b32_e64 v4, v16, v18, s[46:47]                   // 000000004DEC: D1000004 00BA2510
	v_cmp_u_f32_e64 s[46:47], v69, v69                         // 000000004DF4: D048002E 00028B45
	v_add3_u32 v16, v69, v19, 1                                // 000000004DFC: D1FF0010 02062745
	v_cndmask_b32_e64 v5, v16, v18, s[46:47]                   // 000000004E04: D1000005 00BA2510
	v_perm_b32 v60, v5, v4, s52                                // 000000004E0C: D1ED003C 00D20905
	v_cmp_u_f32_e64 s[46:47], v70, v70                         // 000000004E14: D048002E 00028D46
	v_add3_u32 v16, v70, v19, 1                                // 000000004E1C: D1FF0010 02062746
	v_cndmask_b32_e64 v4, v16, v18, s[46:47]                   // 000000004E24: D1000004 00BA2510
	v_cmp_u_f32_e64 s[46:47], v71, v71                         // 000000004E2C: D048002E 00028F47
	v_add3_u32 v16, v71, v19, 1                                // 000000004E34: D1FF0010 02062747
	v_cndmask_b32_e64 v5, v16, v18, s[46:47]                   // 000000004E3C: D1000005 00BA2510
	v_perm_b32 v61, v5, v4, s52                                // 000000004E44: D1ED003D 00D20905
	v_cmp_u_f32_e64 s[46:47], v72, v72                         // 000000004E4C: D048002E 00029148
	v_add3_u32 v16, v72, v19, 1                                // 000000004E54: D1FF0010 02062748
	v_cndmask_b32_e64 v4, v16, v18, s[46:47]                   // 000000004E5C: D1000004 00BA2510
	v_cmp_u_f32_e64 s[46:47], v73, v73                         // 000000004E64: D048002E 00029349
	v_add3_u32 v16, v73, v19, 1                                // 000000004E6C: D1FF0010 02062749
	v_cndmask_b32_e64 v5, v16, v18, s[46:47]                   // 000000004E74: D1000005 00BA2510
	v_perm_b32 v62, v5, v4, s52                                // 000000004E7C: D1ED003E 00D20905
	v_cmp_u_f32_e64 s[46:47], v74, v74                         // 000000004E84: D048002E 0002954A
	v_add3_u32 v16, v74, v19, 1                                // 000000004E8C: D1FF0010 0206274A
	v_cndmask_b32_e64 v4, v16, v18, s[46:47]                   // 000000004E94: D1000004 00BA2510
	v_cmp_u_f32_e64 s[46:47], v75, v75                         // 000000004E9C: D048002E 0002974B
	v_add3_u32 v16, v75, v19, 1                                // 000000004EA4: D1FF0010 0206274B
	v_cndmask_b32_e64 v5, v16, v18, s[46:47]                   // 000000004EAC: D1000005 00BA2510
	v_perm_b32 v63, v5, v4, s52                                // 000000004EB4: D1ED003F 00D20905
	ds_write_b64 v20, v[52:53]                                 // 000000004EBC: D89A0000 00003414
	ds_write_b64 v20, v[54:55] offset:4352                     // 000000004EC4: D89A1100 00003614
	ds_write_b64 v20, v[56:57] offset:8704                     // 000000004ECC: D89A2200 00003814
	ds_write_b64 v20, v[58:59] offset:2176                     // 000000004ED4: D89A0880 00003A14
	ds_write_b64 v20, v[60:61] offset:6528                     // 000000004EDC: D89A1980 00003C14
	ds_write_b64 v20, v[62:63] offset:10880                    // 000000004EE4: D89A2A80 00003E14
	v_lshrrev_b32_e32 v4, 5, v0                                // 000000004EEC: 20080085
	v_xor_b32_e32 v5, 1, v4                                    // 000000004EF0: 2A0A0881
	s_mul_i32 s60, s65, 2                                      // 000000004EF4: 923C8241
	s_cmp_eq_u32 s88, 0                                        // 000000004EF8: BF068058
	s_cselect_b32 s61, 1, 4                                    // 000000004EFC: 853D8481
	s_mul_i32 s60, s61, s60                                    // 000000004F00: 923C3C3D
	v_readlane_b32 s82, v3, 0                                  // 000000004F04: D2890052 00010103
	s_lshr_b32 s61, s82, 24                                    // 000000004F0C: 8F3D9852
	s_and_b32 s82, s82, 0xffffff                               // 000000004F10: 8652FF52 00FFFFFF
	s_mul_i32 s82, s82, s71                                    // 000000004F18: 92524752
	s_mul_i32 s61, s60, s61                                    // 000000004F1C: 923D3D3C
	s_add_u32 s82, s82, s61                                    // 000000004F20: 80523D52
	v_mul_lo_u32 v6, v5, s82                                   // 000000004F24: D2850006 0000A505
	v_readlane_b32 s82, v3, 1                                  // 000000004F2C: D2890052 00010303
	s_lshr_b32 s61, s82, 24                                    // 000000004F34: 8F3D9852
	s_and_b32 s82, s82, 0xffffff                               // 000000004F38: 8652FF52 00FFFFFF
	s_mul_i32 s82, s82, s71                                    // 000000004F40: 92524752
	s_mul_i32 s61, s60, s61                                    // 000000004F44: 923D3D3C
	s_add_u32 s82, s82, s61                                    // 000000004F48: 80523D52
	v_mul_lo_u32 v7, v4, s82                                   // 000000004F4C: D2850007 0000A504
	v_add_u32_e32 v42, v6, v7                                  // 000000004F54: 68540F06
	v_readlane_b32 s82, v3, 2                                  // 000000004F58: D2890052 00010503
	s_lshr_b32 s61, s82, 24                                    // 000000004F60: 8F3D9852
	s_and_b32 s82, s82, 0xffffff                               // 000000004F64: 8652FF52 00FFFFFF
	s_mul_i32 s82, s82, s71                                    // 000000004F6C: 92524752
	s_mul_i32 s61, s60, s61                                    // 000000004F70: 923D3D3C
	s_add_u32 s82, s82, s61                                    // 000000004F74: 80523D52
	v_mul_lo_u32 v6, v5, s82                                   // 000000004F78: D2850006 0000A505
	v_readlane_b32 s82, v3, 3                                  // 000000004F80: D2890052 00010703
	s_lshr_b32 s61, s82, 24                                    // 000000004F88: 8F3D9852
	s_and_b32 s82, s82, 0xffffff                               // 000000004F8C: 8652FF52 00FFFFFF
	s_mul_i32 s82, s82, s71                                    // 000000004F94: 92524752
	s_mul_i32 s61, s60, s61                                    // 000000004F98: 923D3D3C
	s_add_u32 s82, s82, s61                                    // 000000004F9C: 80523D52
	v_mul_lo_u32 v7, v4, s82                                   // 000000004FA0: D2850007 0000A504
	v_add_u32_e32 v43, v6, v7                                  // 000000004FA8: 68560F06
	v_readlane_b32 s82, v3, 4                                  // 000000004FAC: D2890052 00010903
	s_lshr_b32 s61, s82, 24                                    // 000000004FB4: 8F3D9852
	s_and_b32 s82, s82, 0xffffff                               // 000000004FB8: 8652FF52 00FFFFFF
	s_mul_i32 s82, s82, s71                                    // 000000004FC0: 92524752
	s_mul_i32 s61, s60, s61                                    // 000000004FC4: 923D3D3C
	s_add_u32 s82, s82, s61                                    // 000000004FC8: 80523D52
	v_mul_lo_u32 v6, v5, s82                                   // 000000004FCC: D2850006 0000A505
	v_readlane_b32 s82, v3, 5                                  // 000000004FD4: D2890052 00010B03
	s_lshr_b32 s61, s82, 24                                    // 000000004FDC: 8F3D9852
	s_and_b32 s82, s82, 0xffffff                               // 000000004FE0: 8652FF52 00FFFFFF
	s_mul_i32 s82, s82, s71                                    // 000000004FE8: 92524752
	s_mul_i32 s61, s60, s61                                    // 000000004FEC: 923D3D3C
	s_add_u32 s82, s82, s61                                    // 000000004FF0: 80523D52
	v_mul_lo_u32 v7, v4, s82                                   // 000000004FF4: D2850007 0000A504
	v_add_u32_e32 v44, v6, v7                                  // 000000004FFC: 68580F06
	v_readlane_b32 s82, v3, 6                                  // 000000005000: D2890052 00010D03
	s_lshr_b32 s61, s82, 24                                    // 000000005008: 8F3D9852
	s_and_b32 s82, s82, 0xffffff                               // 00000000500C: 8652FF52 00FFFFFF
	s_mul_i32 s82, s82, s71                                    // 000000005014: 92524752
	s_mul_i32 s61, s60, s61                                    // 000000005018: 923D3D3C
	s_add_u32 s82, s82, s61                                    // 00000000501C: 80523D52
	v_mul_lo_u32 v6, v5, s82                                   // 000000005020: D2850006 0000A505
	v_readlane_b32 s82, v3, 7                                  // 000000005028: D2890052 00010F03
	s_lshr_b32 s61, s82, 24                                    // 000000005030: 8F3D9852
	s_and_b32 s82, s82, 0xffffff                               // 000000005034: 8652FF52 00FFFFFF
	s_mul_i32 s82, s82, s71                                    // 00000000503C: 92524752
	s_mul_i32 s61, s60, s61                                    // 000000005040: 923D3D3C
	s_add_u32 s82, s82, s61                                    // 000000005044: 80523D52
	v_mul_lo_u32 v7, v4, s82                                   // 000000005048: D2850007 0000A504
	v_add_u32_e32 v45, v6, v7                                  // 000000005050: 685A0F06
	v_readlane_b32 s82, v3, 8                                  // 000000005054: D2890052 00011103
	s_lshr_b32 s61, s82, 24                                    // 00000000505C: 8F3D9852
	s_and_b32 s82, s82, 0xffffff                               // 000000005060: 8652FF52 00FFFFFF
	s_mul_i32 s82, s82, s71                                    // 000000005068: 92524752
	s_mul_i32 s61, s60, s61                                    // 00000000506C: 923D3D3C
	s_add_u32 s82, s82, s61                                    // 000000005070: 80523D52
	v_mul_lo_u32 v6, v5, s82                                   // 000000005074: D2850006 0000A505
	v_readlane_b32 s82, v3, 9                                  // 00000000507C: D2890052 00011303
	s_lshr_b32 s61, s82, 24                                    // 000000005084: 8F3D9852
	s_and_b32 s82, s82, 0xffffff                               // 000000005088: 8652FF52 00FFFFFF
	s_mul_i32 s82, s82, s71                                    // 000000005090: 92524752
	s_mul_i32 s61, s60, s61                                    // 000000005094: 923D3D3C
	s_add_u32 s82, s82, s61                                    // 000000005098: 80523D52
	v_mul_lo_u32 v7, v4, s82                                   // 00000000509C: D2850007 0000A504
	v_add_u32_e32 v46, v6, v7                                  // 0000000050A4: 685C0F06
	v_readlane_b32 s82, v3, 10                                 // 0000000050A8: D2890052 00011503
	s_lshr_b32 s61, s82, 24                                    // 0000000050B0: 8F3D9852
	s_and_b32 s82, s82, 0xffffff                               // 0000000050B4: 8652FF52 00FFFFFF
	s_mul_i32 s82, s82, s71                                    // 0000000050BC: 92524752
	s_mul_i32 s61, s60, s61                                    // 0000000050C0: 923D3D3C
	s_add_u32 s82, s82, s61                                    // 0000000050C4: 80523D52
	v_mul_lo_u32 v6, v5, s82                                   // 0000000050C8: D2850006 0000A505
	v_readlane_b32 s82, v3, 11                                 // 0000000050D0: D2890052 00011703
	s_lshr_b32 s61, s82, 24                                    // 0000000050D8: 8F3D9852
	s_and_b32 s82, s82, 0xffffff                               // 0000000050DC: 8652FF52 00FFFFFF
	s_mul_i32 s82, s82, s71                                    // 0000000050E4: 92524752
	s_mul_i32 s61, s60, s61                                    // 0000000050E8: 923D3D3C
	s_add_u32 s82, s82, s61                                    // 0000000050EC: 80523D52
	v_mul_lo_u32 v7, v4, s82                                   // 0000000050F0: D2850007 0000A504
	v_add_u32_e32 v47, v6, v7                                  // 0000000050F8: 685E0F06
	v_and_b32_e32 v4, 31, v0                                   // 0000000050FC: 2608009F
	v_lshrrev_b32_e32 v4, 1, v4                                // 000000005100: 20080881
	s_cmp_eq_u32 s88, 0                                        // 000000005104: BF068058
	s_cselect_b32 s61, 2, 4                                    // 000000005108: 853D8482
	v_mul_lo_u32 v4, v4, s61                                   // 00000000510C: D2850004 00007B04
	v_and_b32_e64 v5, v0, 1                                    // 000000005114: D1130005 00010300
	v_add_u32_e32 v4, v4, v5                                   // 00000000511C: 68080B04
	v_lshlrev_b32_e32 v4, 2, v4                                // 000000005120: 24080882
	v_add_u32_e32 v42, v42, v4                                 // 000000005124: 6854092A
	v_add_u32_e32 v43, v43, v4                                 // 000000005128: 6856092B
	v_add_u32_e32 v44, v44, v4                                 // 00000000512C: 6858092C
	v_add_u32_e32 v45, v45, v4                                 // 000000005130: 685A092D
	v_add_u32_e32 v46, v46, v4                                 // 000000005134: 685C092E
	v_add_u32_e32 v47, v47, v4                                 // 000000005138: 685E092F
	s_waitcnt lgkmcnt(0)                                       // 00000000513C: BF8CC07F
	s_barrier                                                  // 000000005140: BF8A0000
	ds_read_b32 v52, v21                                       // 000000005144: D86C0000 34000015
	ds_read_b32 v53, v21 offset:64                             // 00000000514C: D86C0040 35000015
	ds_read_b32 v54, v21 offset:2176                           // 000000005154: D86C0880 36000015
	ds_read_b32 v55, v21 offset:2240                           // 00000000515C: D86C08C0 37000015
	ds_read_b32 v56, v21 offset:4352                           // 000000005164: D86C1100 38000015
	ds_read_b32 v57, v21 offset:4416                           // 00000000516C: D86C1140 39000015
	ds_read_b32 v58, v21 offset:6528                           // 000000005174: D86C1980 3A000015
	ds_read_b32 v59, v21 offset:6592                           // 00000000517C: D86C19C0 3B000015
	ds_read_b32 v60, v21 offset:8704                           // 000000005184: D86C2200 3C000015
	ds_read_b32 v61, v21 offset:8768                           // 00000000518C: D86C2240 3D000015
	ds_read_b32 v62, v21 offset:10880                          // 000000005194: D86C2A80 3E000015
	ds_read_b32 v63, v21 offset:10944                          // 00000000519C: D86C2AC0 3F000015
	s_waitcnt lgkmcnt(0)                                       // 0000000051A4: BF8CC07F
	s_mov_b32 s36, -1                                          // 0000000051A8: BEA400C1
	s_mov_b32 s37, -1                                          // 0000000051AC: BEA500C1
	v_mov_b32_e32 v7, 0                                        // 0000000051B0: 7E0E0280
	s_or_b32 s9, s9, 0x40000                                   // 0000000051B4: 8709FF09 00040000
	s_mov_b64 exec, s[36:37]                                   // 0000000051BC: BEFE0124
	v_mov_b32_e32 v6, v42                                      // 0000000051C0: 7E0C032A
	s_mov_b64 s[60:61], 0                                      // 0000000051C4: BEBC0180
	v_readlane_b32 s82, v3, 0                                  // 0000000051C8: D2890052 00010103
	s_and_b32 s82, s82, 0xffffff                               // 0000000051D0: 8652FF52 00FFFFFF
	s_cmp_lt_u32 s82, s66                                      // 0000000051D8: BF0A4252
	s_cselect_b32 s20, s36, s60                                // 0000000051DC: 85143C24
	v_readlane_b32 s82, v3, 1                                  // 0000000051E0: D2890052 00010303
	s_and_b32 s82, s82, 0xffffff                               // 0000000051E8: 8652FF52 00FFFFFF
	s_cmp_lt_u32 s82, s66                                      // 0000000051F0: BF0A4252
	s_cselect_b32 s21, s36, s60                                // 0000000051F4: 85153C24
	s_mov_b64 exec, s[20:21]                                   // 0000000051F8: BEFE0114
	buffer_store_dword v52, v6, s[8:11], 0 offen               // 0000000051FC: E0701000 80023406
	buffer_store_dword v54, v6, s[8:11], 0 offen offset:128    // 000000005204: E0701080 80023606
	s_mov_b64 exec, s[36:37]                                   // 00000000520C: BEFE0124
	v_mov_b32_e32 v6, v43                                      // 000000005210: 7E0C032B
	s_mov_b64 s[60:61], 0                                      // 000000005214: BEBC0180
	v_readlane_b32 s82, v3, 2                                  // 000000005218: D2890052 00010503
	s_and_b32 s82, s82, 0xffffff                               // 000000005220: 8652FF52 00FFFFFF
	s_cmp_lt_u32 s82, s66                                      // 000000005228: BF0A4252
	s_cselect_b32 s20, s36, s60                                // 00000000522C: 85143C24
	v_readlane_b32 s82, v3, 3                                  // 000000005230: D2890052 00010703
	s_and_b32 s82, s82, 0xffffff                               // 000000005238: 8652FF52 00FFFFFF
	s_cmp_lt_u32 s82, s66                                      // 000000005240: BF0A4252
	s_cselect_b32 s21, s36, s60                                // 000000005244: 85153C24
	s_mov_b64 exec, s[20:21]                                   // 000000005248: BEFE0114
	buffer_store_dword v53, v6, s[8:11], 0 offen               // 00000000524C: E0701000 80023506
	buffer_store_dword v55, v6, s[8:11], 0 offen offset:128    // 000000005254: E0701080 80023706
	s_mov_b64 exec, s[36:37]                                   // 00000000525C: BEFE0124
	v_mov_b32_e32 v6, v44                                      // 000000005260: 7E0C032C
	s_mov_b64 s[60:61], 0                                      // 000000005264: BEBC0180
	v_readlane_b32 s82, v3, 4                                  // 000000005268: D2890052 00010903
	s_and_b32 s82, s82, 0xffffff                               // 000000005270: 8652FF52 00FFFFFF
	s_cmp_lt_u32 s82, s66                                      // 000000005278: BF0A4252
	s_cselect_b32 s20, s36, s60                                // 00000000527C: 85143C24
	v_readlane_b32 s82, v3, 5                                  // 000000005280: D2890052 00010B03
	s_and_b32 s82, s82, 0xffffff                               // 000000005288: 8652FF52 00FFFFFF
	s_cmp_lt_u32 s82, s66                                      // 000000005290: BF0A4252
	s_cselect_b32 s21, s36, s60                                // 000000005294: 85153C24
	s_mov_b64 exec, s[20:21]                                   // 000000005298: BEFE0114
	buffer_store_dword v56, v6, s[8:11], 0 offen               // 00000000529C: E0701000 80023806
	buffer_store_dword v58, v6, s[8:11], 0 offen offset:128    // 0000000052A4: E0701080 80023A06
	s_mov_b64 exec, s[36:37]                                   // 0000000052AC: BEFE0124
	v_mov_b32_e32 v6, v45                                      // 0000000052B0: 7E0C032D
	s_mov_b64 s[60:61], 0                                      // 0000000052B4: BEBC0180
	v_readlane_b32 s82, v3, 6                                  // 0000000052B8: D2890052 00010D03
	s_and_b32 s82, s82, 0xffffff                               // 0000000052C0: 8652FF52 00FFFFFF
	s_cmp_lt_u32 s82, s66                                      // 0000000052C8: BF0A4252
	s_cselect_b32 s20, s36, s60                                // 0000000052CC: 85143C24
	v_readlane_b32 s82, v3, 7                                  // 0000000052D0: D2890052 00010F03
	s_and_b32 s82, s82, 0xffffff                               // 0000000052D8: 8652FF52 00FFFFFF
	s_cmp_lt_u32 s82, s66                                      // 0000000052E0: BF0A4252
	s_cselect_b32 s21, s36, s60                                // 0000000052E4: 85153C24
	s_mov_b64 exec, s[20:21]                                   // 0000000052E8: BEFE0114
	buffer_store_dword v57, v6, s[8:11], 0 offen               // 0000000052EC: E0701000 80023906
	buffer_store_dword v59, v6, s[8:11], 0 offen offset:128    // 0000000052F4: E0701080 80023B06
	s_mov_b64 exec, s[36:37]                                   // 0000000052FC: BEFE0124
	v_mov_b32_e32 v6, v46                                      // 000000005300: 7E0C032E
	s_mov_b64 s[60:61], 0                                      // 000000005304: BEBC0180
	v_readlane_b32 s82, v3, 8                                  // 000000005308: D2890052 00011103
	s_and_b32 s82, s82, 0xffffff                               // 000000005310: 8652FF52 00FFFFFF
	s_cmp_lt_u32 s82, s66                                      // 000000005318: BF0A4252
	s_cselect_b32 s20, s36, s60                                // 00000000531C: 85143C24
	v_readlane_b32 s82, v3, 9                                  // 000000005320: D2890052 00011303
	s_and_b32 s82, s82, 0xffffff                               // 000000005328: 8652FF52 00FFFFFF
	s_cmp_lt_u32 s82, s66                                      // 000000005330: BF0A4252
	s_cselect_b32 s21, s36, s60                                // 000000005334: 85153C24
	s_mov_b64 exec, s[20:21]                                   // 000000005338: BEFE0114
	buffer_store_dword v60, v6, s[8:11], 0 offen               // 00000000533C: E0701000 80023C06
	buffer_store_dword v62, v6, s[8:11], 0 offen offset:128    // 000000005344: E0701080 80023E06
	s_mov_b64 exec, s[36:37]                                   // 00000000534C: BEFE0124
	v_mov_b32_e32 v6, v47                                      // 000000005350: 7E0C032F
	s_mov_b64 s[60:61], 0                                      // 000000005354: BEBC0180
	v_readlane_b32 s82, v3, 10                                 // 000000005358: D2890052 00011503
	s_and_b32 s82, s82, 0xffffff                               // 000000005360: 8652FF52 00FFFFFF
	s_cmp_lt_u32 s82, s66                                      // 000000005368: BF0A4252
	s_cselect_b32 s20, s36, s60                                // 00000000536C: 85143C24
	v_readlane_b32 s82, v3, 11                                 // 000000005370: D2890052 00011703
	s_and_b32 s82, s82, 0xffffff                               // 000000005378: 8652FF52 00FFFFFF
	s_cmp_lt_u32 s82, s66                                      // 000000005380: BF0A4252
	s_cselect_b32 s21, s36, s60                                // 000000005384: 85153C24
	s_mov_b64 exec, s[20:21]                                   // 000000005388: BEFE0114
	buffer_store_dword v61, v6, s[8:11], 0 offen               // 00000000538C: E0701000 80023D06
	buffer_store_dword v63, v6, s[8:11], 0 offen offset:128    // 000000005394: E0701080 80023F06
	s_mov_b64 exec, s[36:37]                                   // 00000000539C: BEFE0124
	s_branch label_18DF                                        // 0000000053A0: BF820E73

00000000000053a4 <label_0A69>:
	ds_write_b64 v20, v[52:53]                                 // 0000000053A4: D89A0000 00003414
	ds_write_b64 v20, v[56:57] offset:4352                     // 0000000053AC: D89A1100 00003814
	ds_write_b64 v20, v[60:61] offset:8704                     // 0000000053B4: D89A2200 00003C14
	ds_write_b64 v20, v[64:65] offset:2176                     // 0000000053BC: D89A0880 00004014
	ds_write_b64 v20, v[68:69] offset:6528                     // 0000000053C4: D89A1980 00004414
	ds_write_b64 v20, v[72:73] offset:10880                    // 0000000053CC: D89A2A80 00004814
	v_lshrrev_b32_e32 v4, 5, v0                                // 0000000053D4: 20080085
	v_xor_b32_e32 v5, 1, v4                                    // 0000000053D8: 2A0A0881
	s_mul_i32 s60, s65, 2                                      // 0000000053DC: 923C8241
	s_cmp_eq_u32 s88, 0                                        // 0000000053E0: BF068058
	s_cselect_b32 s61, 1, 4                                    // 0000000053E4: 853D8481
	s_mul_i32 s60, s61, s60                                    // 0000000053E8: 923C3C3D
	v_readlane_b32 s82, v3, 0                                  // 0000000053EC: D2890052 00010103
	s_lshr_b32 s61, s82, 24                                    // 0000000053F4: 8F3D9852
	s_and_b32 s82, s82, 0xffffff                               // 0000000053F8: 8652FF52 00FFFFFF
	s_mul_i32 s82, s82, s71                                    // 000000005400: 92524752
	s_mul_i32 s61, s60, s61                                    // 000000005404: 923D3D3C
	s_add_u32 s82, s82, s61                                    // 000000005408: 80523D52
	v_mul_lo_u32 v6, v5, s82                                   // 00000000540C: D2850006 0000A505
	v_readlane_b32 s82, v3, 1                                  // 000000005414: D2890052 00010303
	s_lshr_b32 s61, s82, 24                                    // 00000000541C: 8F3D9852
	s_and_b32 s82, s82, 0xffffff                               // 000000005420: 8652FF52 00FFFFFF
	s_mul_i32 s82, s82, s71                                    // 000000005428: 92524752
	s_mul_i32 s61, s60, s61                                    // 00000000542C: 923D3D3C
	s_add_u32 s82, s82, s61                                    // 000000005430: 80523D52
	v_mul_lo_u32 v7, v4, s82                                   // 000000005434: D2850007 0000A504
	v_add_u32_e32 v42, v6, v7                                  // 00000000543C: 68540F06
	v_readlane_b32 s82, v3, 2                                  // 000000005440: D2890052 00010503
	s_lshr_b32 s61, s82, 24                                    // 000000005448: 8F3D9852
	s_and_b32 s82, s82, 0xffffff                               // 00000000544C: 8652FF52 00FFFFFF
	s_mul_i32 s82, s82, s71                                    // 000000005454: 92524752
	s_mul_i32 s61, s60, s61                                    // 000000005458: 923D3D3C
	s_add_u32 s82, s82, s61                                    // 00000000545C: 80523D52
	v_mul_lo_u32 v6, v5, s82                                   // 000000005460: D2850006 0000A505
	v_readlane_b32 s82, v3, 3                                  // 000000005468: D2890052 00010703
	s_lshr_b32 s61, s82, 24                                    // 000000005470: 8F3D9852
	s_and_b32 s82, s82, 0xffffff                               // 000000005474: 8652FF52 00FFFFFF
	s_mul_i32 s82, s82, s71                                    // 00000000547C: 92524752
	s_mul_i32 s61, s60, s61                                    // 000000005480: 923D3D3C
	s_add_u32 s82, s82, s61                                    // 000000005484: 80523D52
	v_mul_lo_u32 v7, v4, s82                                   // 000000005488: D2850007 0000A504
	v_add_u32_e32 v43, v6, v7                                  // 000000005490: 68560F06
	v_readlane_b32 s82, v3, 4                                  // 000000005494: D2890052 00010903
	s_lshr_b32 s61, s82, 24                                    // 00000000549C: 8F3D9852
	s_and_b32 s82, s82, 0xffffff                               // 0000000054A0: 8652FF52 00FFFFFF
	s_mul_i32 s82, s82, s71                                    // 0000000054A8: 92524752
	s_mul_i32 s61, s60, s61                                    // 0000000054AC: 923D3D3C
	s_add_u32 s82, s82, s61                                    // 0000000054B0: 80523D52
	v_mul_lo_u32 v6, v5, s82                                   // 0000000054B4: D2850006 0000A505
	v_readlane_b32 s82, v3, 5                                  // 0000000054BC: D2890052 00010B03
	s_lshr_b32 s61, s82, 24                                    // 0000000054C4: 8F3D9852
	s_and_b32 s82, s82, 0xffffff                               // 0000000054C8: 8652FF52 00FFFFFF
	s_mul_i32 s82, s82, s71                                    // 0000000054D0: 92524752
	s_mul_i32 s61, s60, s61                                    // 0000000054D4: 923D3D3C
	s_add_u32 s82, s82, s61                                    // 0000000054D8: 80523D52
	v_mul_lo_u32 v7, v4, s82                                   // 0000000054DC: D2850007 0000A504
	v_add_u32_e32 v44, v6, v7                                  // 0000000054E4: 68580F06
	v_readlane_b32 s82, v3, 6                                  // 0000000054E8: D2890052 00010D03
	s_lshr_b32 s61, s82, 24                                    // 0000000054F0: 8F3D9852
	s_and_b32 s82, s82, 0xffffff                               // 0000000054F4: 8652FF52 00FFFFFF
	s_mul_i32 s82, s82, s71                                    // 0000000054FC: 92524752
	s_mul_i32 s61, s60, s61                                    // 000000005500: 923D3D3C
	s_add_u32 s82, s82, s61                                    // 000000005504: 80523D52
	v_mul_lo_u32 v6, v5, s82                                   // 000000005508: D2850006 0000A505
	v_readlane_b32 s82, v3, 7                                  // 000000005510: D2890052 00010F03
	s_lshr_b32 s61, s82, 24                                    // 000000005518: 8F3D9852
	s_and_b32 s82, s82, 0xffffff                               // 00000000551C: 8652FF52 00FFFFFF
	s_mul_i32 s82, s82, s71                                    // 000000005524: 92524752
	s_mul_i32 s61, s60, s61                                    // 000000005528: 923D3D3C
	s_add_u32 s82, s82, s61                                    // 00000000552C: 80523D52
	v_mul_lo_u32 v7, v4, s82                                   // 000000005530: D2850007 0000A504
	v_add_u32_e32 v45, v6, v7                                  // 000000005538: 685A0F06
	v_readlane_b32 s82, v3, 8                                  // 00000000553C: D2890052 00011103
	s_lshr_b32 s61, s82, 24                                    // 000000005544: 8F3D9852
	s_and_b32 s82, s82, 0xffffff                               // 000000005548: 8652FF52 00FFFFFF
	s_mul_i32 s82, s82, s71                                    // 000000005550: 92524752
	s_mul_i32 s61, s60, s61                                    // 000000005554: 923D3D3C
	s_add_u32 s82, s82, s61                                    // 000000005558: 80523D52
	v_mul_lo_u32 v6, v5, s82                                   // 00000000555C: D2850006 0000A505
	v_readlane_b32 s82, v3, 9                                  // 000000005564: D2890052 00011303
	s_lshr_b32 s61, s82, 24                                    // 00000000556C: 8F3D9852
	s_and_b32 s82, s82, 0xffffff                               // 000000005570: 8652FF52 00FFFFFF
	s_mul_i32 s82, s82, s71                                    // 000000005578: 92524752
	s_mul_i32 s61, s60, s61                                    // 00000000557C: 923D3D3C
	s_add_u32 s82, s82, s61                                    // 000000005580: 80523D52
	v_mul_lo_u32 v7, v4, s82                                   // 000000005584: D2850007 0000A504
	v_add_u32_e32 v46, v6, v7                                  // 00000000558C: 685C0F06
	v_readlane_b32 s82, v3, 10                                 // 000000005590: D2890052 00011503
	s_lshr_b32 s61, s82, 24                                    // 000000005598: 8F3D9852
	s_and_b32 s82, s82, 0xffffff                               // 00000000559C: 8652FF52 00FFFFFF
	s_mul_i32 s82, s82, s71                                    // 0000000055A4: 92524752
	s_mul_i32 s61, s60, s61                                    // 0000000055A8: 923D3D3C
	s_add_u32 s82, s82, s61                                    // 0000000055AC: 80523D52
	v_mul_lo_u32 v6, v5, s82                                   // 0000000055B0: D2850006 0000A505
	v_readlane_b32 s82, v3, 11                                 // 0000000055B8: D2890052 00011703
	s_lshr_b32 s61, s82, 24                                    // 0000000055C0: 8F3D9852
	s_and_b32 s82, s82, 0xffffff                               // 0000000055C4: 8652FF52 00FFFFFF
	s_mul_i32 s82, s82, s71                                    // 0000000055CC: 92524752
	s_mul_i32 s61, s60, s61                                    // 0000000055D0: 923D3D3C
	s_add_u32 s82, s82, s61                                    // 0000000055D4: 80523D52
	v_mul_lo_u32 v7, v4, s82                                   // 0000000055D8: D2850007 0000A504
	v_add_u32_e32 v47, v6, v7                                  // 0000000055E0: 685E0F06
	v_and_b32_e32 v4, 31, v0                                   // 0000000055E4: 2608009F
	v_lshrrev_b32_e32 v4, 1, v4                                // 0000000055E8: 20080881
	s_cmp_eq_u32 s88, 0                                        // 0000000055EC: BF068058
	s_cselect_b32 s61, 2, 4                                    // 0000000055F0: 853D8482
	v_mul_lo_u32 v4, v4, s61                                   // 0000000055F4: D2850004 00007B04
	v_and_b32_e64 v5, v0, 1                                    // 0000000055FC: D1130005 00010300
	v_add_u32_e32 v4, v4, v5                                   // 000000005604: 68080B04
	v_lshlrev_b32_e32 v4, 2, v4                                // 000000005608: 24080882
	v_add_u32_e32 v42, v42, v4                                 // 00000000560C: 6854092A
	v_add_u32_e32 v43, v43, v4                                 // 000000005610: 6856092B
	v_add_u32_e32 v44, v44, v4                                 // 000000005614: 6858092C
	v_add_u32_e32 v45, v45, v4                                 // 000000005618: 685A092D
	v_add_u32_e32 v46, v46, v4                                 // 00000000561C: 685C092E
	v_add_u32_e32 v47, v47, v4                                 // 000000005620: 685E092F
	s_waitcnt lgkmcnt(0)                                       // 000000005624: BF8CC07F
	s_barrier                                                  // 000000005628: BF8A0000
	ds_read_b32 v52, v21                                       // 00000000562C: D86C0000 34000015
	ds_read_b32 v53, v21 offset:64                             // 000000005634: D86C0040 35000015
	ds_read_b32 v56, v21 offset:2176                           // 00000000563C: D86C0880 38000015
	ds_read_b32 v57, v21 offset:2240                           // 000000005644: D86C08C0 39000015
	ds_read_b32 v60, v21 offset:4352                           // 00000000564C: D86C1100 3C000015
	ds_read_b32 v61, v21 offset:4416                           // 000000005654: D86C1140 3D000015
	ds_read_b32 v64, v21 offset:6528                           // 00000000565C: D86C1980 40000015
	ds_read_b32 v65, v21 offset:6592                           // 000000005664: D86C19C0 41000015
	ds_read_b32 v68, v21 offset:8704                           // 00000000566C: D86C2200 44000015
	ds_read_b32 v69, v21 offset:8768                           // 000000005674: D86C2240 45000015
	ds_read_b32 v72, v21 offset:10880                          // 00000000567C: D86C2A80 48000015
	ds_read_b32 v73, v21 offset:10944                          // 000000005684: D86C2AC0 49000015
	s_waitcnt lgkmcnt(0)                                       // 00000000568C: BF8CC07F
	s_mov_b32 s36, -1                                          // 000000005690: BEA400C1
	s_mov_b32 s37, -1                                          // 000000005694: BEA500C1
	v_mov_b32_e32 v7, 0                                        // 000000005698: 7E0E0280
	s_mov_b64 exec, s[36:37]                                   // 00000000569C: BEFE0124
	v_mov_b32_e32 v6, v42                                      // 0000000056A0: 7E0C032A
	s_mov_b64 s[60:61], 0                                      // 0000000056A4: BEBC0180
	v_readlane_b32 s82, v3, 0                                  // 0000000056A8: D2890052 00010103
	s_and_b32 s82, s82, 0xffffff                               // 0000000056B0: 8652FF52 00FFFFFF
	s_cmp_lt_u32 s82, s66                                      // 0000000056B8: BF0A4252
	s_cselect_b32 s20, s36, s60                                // 0000000056BC: 85143C24
	v_readlane_b32 s82, v3, 1                                  // 0000000056C0: D2890052 00010303
	s_and_b32 s82, s82, 0xffffff                               // 0000000056C8: 8652FF52 00FFFFFF
	s_cmp_lt_u32 s82, s66                                      // 0000000056D0: BF0A4252
	s_cselect_b32 s21, s36, s60                                // 0000000056D4: 85153C24
	s_mov_b64 exec, s[20:21]                                   // 0000000056D8: BEFE0114
	global_atomic_add_f32 v6, v52, s[8:9]                      // 0000000056DC: DD348000 00083406
	global_atomic_add_f32 v6, v56, s[8:9] offset:256           // 0000000056E4: DD348100 00083806
	s_mov_b64 exec, s[36:37]                                   // 0000000056EC: BEFE0124
	v_mov_b32_e32 v6, v43                                      // 0000000056F0: 7E0C032B
	s_mov_b64 s[60:61], 0                                      // 0000000056F4: BEBC0180
	v_readlane_b32 s82, v3, 2                                  // 0000000056F8: D2890052 00010503
	s_and_b32 s82, s82, 0xffffff                               // 000000005700: 8652FF52 00FFFFFF
	s_cmp_lt_u32 s82, s66                                      // 000000005708: BF0A4252
	s_cselect_b32 s20, s36, s60                                // 00000000570C: 85143C24
	v_readlane_b32 s82, v3, 3                                  // 000000005710: D2890052 00010703
	s_and_b32 s82, s82, 0xffffff                               // 000000005718: 8652FF52 00FFFFFF
	s_cmp_lt_u32 s82, s66                                      // 000000005720: BF0A4252
	s_cselect_b32 s21, s36, s60                                // 000000005724: 85153C24
	s_mov_b64 exec, s[20:21]                                   // 000000005728: BEFE0114
	global_atomic_add_f32 v6, v53, s[8:9]                      // 00000000572C: DD348000 00083506
	global_atomic_add_f32 v6, v57, s[8:9] offset:256           // 000000005734: DD348100 00083906
	s_mov_b64 exec, s[36:37]                                   // 00000000573C: BEFE0124
	v_mov_b32_e32 v6, v44                                      // 000000005740: 7E0C032C
	s_mov_b64 s[60:61], 0                                      // 000000005744: BEBC0180
	v_readlane_b32 s82, v3, 4                                  // 000000005748: D2890052 00010903
	s_and_b32 s82, s82, 0xffffff                               // 000000005750: 8652FF52 00FFFFFF
	s_cmp_lt_u32 s82, s66                                      // 000000005758: BF0A4252
	s_cselect_b32 s20, s36, s60                                // 00000000575C: 85143C24
	v_readlane_b32 s82, v3, 5                                  // 000000005760: D2890052 00010B03
	s_and_b32 s82, s82, 0xffffff                               // 000000005768: 8652FF52 00FFFFFF
	s_cmp_lt_u32 s82, s66                                      // 000000005770: BF0A4252
	s_cselect_b32 s21, s36, s60                                // 000000005774: 85153C24
	s_mov_b64 exec, s[20:21]                                   // 000000005778: BEFE0114
	global_atomic_add_f32 v6, v60, s[8:9]                      // 00000000577C: DD348000 00083C06
	global_atomic_add_f32 v6, v64, s[8:9] offset:256           // 000000005784: DD348100 00084006
	s_mov_b64 exec, s[36:37]                                   // 00000000578C: BEFE0124
	v_mov_b32_e32 v6, v45                                      // 000000005790: 7E0C032D
	s_mov_b64 s[60:61], 0                                      // 000000005794: BEBC0180
	v_readlane_b32 s82, v3, 6                                  // 000000005798: D2890052 00010D03
	s_and_b32 s82, s82, 0xffffff                               // 0000000057A0: 8652FF52 00FFFFFF
	s_cmp_lt_u32 s82, s66                                      // 0000000057A8: BF0A4252
	s_cselect_b32 s20, s36, s60                                // 0000000057AC: 85143C24
	v_readlane_b32 s82, v3, 7                                  // 0000000057B0: D2890052 00010F03
	s_and_b32 s82, s82, 0xffffff                               // 0000000057B8: 8652FF52 00FFFFFF
	s_cmp_lt_u32 s82, s66                                      // 0000000057C0: BF0A4252
	s_cselect_b32 s21, s36, s60                                // 0000000057C4: 85153C24
	s_mov_b64 exec, s[20:21]                                   // 0000000057C8: BEFE0114
	global_atomic_add_f32 v6, v61, s[8:9]                      // 0000000057CC: DD348000 00083D06
	global_atomic_add_f32 v6, v65, s[8:9] offset:256           // 0000000057D4: DD348100 00084106
	s_mov_b64 exec, s[36:37]                                   // 0000000057DC: BEFE0124
	v_mov_b32_e32 v6, v46                                      // 0000000057E0: 7E0C032E
	s_mov_b64 s[60:61], 0                                      // 0000000057E4: BEBC0180
	v_readlane_b32 s82, v3, 8                                  // 0000000057E8: D2890052 00011103
	s_and_b32 s82, s82, 0xffffff                               // 0000000057F0: 8652FF52 00FFFFFF
	s_cmp_lt_u32 s82, s66                                      // 0000000057F8: BF0A4252
	s_cselect_b32 s20, s36, s60                                // 0000000057FC: 85143C24
	v_readlane_b32 s82, v3, 9                                  // 000000005800: D2890052 00011303
	s_and_b32 s82, s82, 0xffffff                               // 000000005808: 8652FF52 00FFFFFF
	s_cmp_lt_u32 s82, s66                                      // 000000005810: BF0A4252
	s_cselect_b32 s21, s36, s60                                // 000000005814: 85153C24
	s_mov_b64 exec, s[20:21]                                   // 000000005818: BEFE0114
	global_atomic_add_f32 v6, v68, s[8:9]                      // 00000000581C: DD348000 00084406
	global_atomic_add_f32 v6, v72, s[8:9] offset:256           // 000000005824: DD348100 00084806
	s_mov_b64 exec, s[36:37]                                   // 00000000582C: BEFE0124
	v_mov_b32_e32 v6, v47                                      // 000000005830: 7E0C032F
	s_mov_b64 s[60:61], 0                                      // 000000005834: BEBC0180
	v_readlane_b32 s82, v3, 10                                 // 000000005838: D2890052 00011503
	s_and_b32 s82, s82, 0xffffff                               // 000000005840: 8652FF52 00FFFFFF
	s_cmp_lt_u32 s82, s66                                      // 000000005848: BF0A4252
	s_cselect_b32 s20, s36, s60                                // 00000000584C: 85143C24
	v_readlane_b32 s82, v3, 11                                 // 000000005850: D2890052 00011703
	s_and_b32 s82, s82, 0xffffff                               // 000000005858: 8652FF52 00FFFFFF
	s_cmp_lt_u32 s82, s66                                      // 000000005860: BF0A4252
	s_cselect_b32 s21, s36, s60                                // 000000005864: 85153C24
	s_mov_b64 exec, s[20:21]                                   // 000000005868: BEFE0114
	global_atomic_add_f32 v6, v69, s[8:9]                      // 00000000586C: DD348000 00084506
	global_atomic_add_f32 v6, v73, s[8:9] offset:256           // 000000005874: DD348100 00084906
	s_mov_b64 exec, s[36:37]                                   // 00000000587C: BEFE0124
	ds_write_b64 v20, v[54:55]                                 // 000000005880: D89A0000 00003614
	ds_write_b64 v20, v[58:59] offset:4352                     // 000000005888: D89A1100 00003A14
	ds_write_b64 v20, v[62:63] offset:8704                     // 000000005890: D89A2200 00003E14
	ds_write_b64 v20, v[66:67] offset:2176                     // 000000005898: D89A0880 00004214
	ds_write_b64 v20, v[70:71] offset:6528                     // 0000000058A0: D89A1980 00004614
	ds_write_b64 v20, v[74:75] offset:10880                    // 0000000058A8: D89A2A80 00004A14
	s_waitcnt lgkmcnt(0)                                       // 0000000058B0: BF8CC07F
	s_barrier                                                  // 0000000058B4: BF8A0000
	ds_read_b32 v54, v21                                       // 0000000058B8: D86C0000 36000015
	ds_read_b32 v55, v21 offset:64                             // 0000000058C0: D86C0040 37000015
	ds_read_b32 v58, v21 offset:2176                           // 0000000058C8: D86C0880 3A000015
	ds_read_b32 v59, v21 offset:2240                           // 0000000058D0: D86C08C0 3B000015
	ds_read_b32 v62, v21 offset:4352                           // 0000000058D8: D86C1100 3E000015
	ds_read_b32 v63, v21 offset:4416                           // 0000000058E0: D86C1140 3F000015
	ds_read_b32 v66, v21 offset:6528                           // 0000000058E8: D86C1980 42000015
	ds_read_b32 v67, v21 offset:6592                           // 0000000058F0: D86C19C0 43000015
	ds_read_b32 v70, v21 offset:8704                           // 0000000058F8: D86C2200 46000015
	ds_read_b32 v71, v21 offset:8768                           // 000000005900: D86C2240 47000015
	ds_read_b32 v74, v21 offset:10880                          // 000000005908: D86C2A80 4A000015
	ds_read_b32 v75, v21 offset:10944                          // 000000005910: D86C2AC0 4B000015
	s_waitcnt lgkmcnt(0)                                       // 000000005918: BF8CC07F
	v_mov_b32_e32 v7, 0                                        // 00000000591C: 7E0E0280
	s_mov_b64 exec, s[36:37]                                   // 000000005920: BEFE0124
	v_mov_b32_e32 v6, v42                                      // 000000005924: 7E0C032A
	s_mov_b64 s[60:61], 0                                      // 000000005928: BEBC0180
	v_readlane_b32 s82, v3, 0                                  // 00000000592C: D2890052 00010103
	s_and_b32 s82, s82, 0xffffff                               // 000000005934: 8652FF52 00FFFFFF
	s_cmp_lt_u32 s82, s66                                      // 00000000593C: BF0A4252
	s_cselect_b32 s20, s36, s60                                // 000000005940: 85143C24
	v_readlane_b32 s82, v3, 1                                  // 000000005944: D2890052 00010303
	s_and_b32 s82, s82, 0xffffff                               // 00000000594C: 8652FF52 00FFFFFF
	s_cmp_lt_u32 s82, s66                                      // 000000005954: BF0A4252
	s_cselect_b32 s21, s36, s60                                // 000000005958: 85153C24
	s_mov_b64 exec, s[20:21]                                   // 00000000595C: BEFE0114
	global_atomic_add_f32 v6, v54, s[8:9] offset:8             // 000000005960: DD348008 00083606
	global_atomic_add_f32 v6, v58, s[8:9] offset:264           // 000000005968: DD348108 00083A06
	s_mov_b64 exec, s[36:37]                                   // 000000005970: BEFE0124
	v_mov_b32_e32 v6, v43                                      // 000000005974: 7E0C032B
	s_mov_b64 s[60:61], 0                                      // 000000005978: BEBC0180
	v_readlane_b32 s82, v3, 2                                  // 00000000597C: D2890052 00010503
	s_and_b32 s82, s82, 0xffffff                               // 000000005984: 8652FF52 00FFFFFF
	s_cmp_lt_u32 s82, s66                                      // 00000000598C: BF0A4252
	s_cselect_b32 s20, s36, s60                                // 000000005990: 85143C24
	v_readlane_b32 s82, v3, 3                                  // 000000005994: D2890052 00010703
	s_and_b32 s82, s82, 0xffffff                               // 00000000599C: 8652FF52 00FFFFFF
	s_cmp_lt_u32 s82, s66                                      // 0000000059A4: BF0A4252
	s_cselect_b32 s21, s36, s60                                // 0000000059A8: 85153C24
	s_mov_b64 exec, s[20:21]                                   // 0000000059AC: BEFE0114
	global_atomic_add_f32 v6, v55, s[8:9] offset:8             // 0000000059B0: DD348008 00083706
	global_atomic_add_f32 v6, v59, s[8:9] offset:264           // 0000000059B8: DD348108 00083B06
	s_mov_b64 exec, s[36:37]                                   // 0000000059C0: BEFE0124
	v_mov_b32_e32 v6, v44                                      // 0000000059C4: 7E0C032C
	s_mov_b64 s[60:61], 0                                      // 0000000059C8: BEBC0180
	v_readlane_b32 s82, v3, 4                                  // 0000000059CC: D2890052 00010903
	s_and_b32 s82, s82, 0xffffff                               // 0000000059D4: 8652FF52 00FFFFFF
	s_cmp_lt_u32 s82, s66                                      // 0000000059DC: BF0A4252
	s_cselect_b32 s20, s36, s60                                // 0000000059E0: 85143C24
	v_readlane_b32 s82, v3, 5                                  // 0000000059E4: D2890052 00010B03
	s_and_b32 s82, s82, 0xffffff                               // 0000000059EC: 8652FF52 00FFFFFF
	s_cmp_lt_u32 s82, s66                                      // 0000000059F4: BF0A4252
	s_cselect_b32 s21, s36, s60                                // 0000000059F8: 85153C24
	s_mov_b64 exec, s[20:21]                                   // 0000000059FC: BEFE0114
	global_atomic_add_f32 v6, v62, s[8:9] offset:8             // 000000005A00: DD348008 00083E06
	global_atomic_add_f32 v6, v66, s[8:9] offset:264           // 000000005A08: DD348108 00084206
	s_mov_b64 exec, s[36:37]                                   // 000000005A10: BEFE0124
	v_mov_b32_e32 v6, v45                                      // 000000005A14: 7E0C032D
	s_mov_b64 s[60:61], 0                                      // 000000005A18: BEBC0180
	v_readlane_b32 s82, v3, 6                                  // 000000005A1C: D2890052 00010D03
	s_and_b32 s82, s82, 0xffffff                               // 000000005A24: 8652FF52 00FFFFFF
	s_cmp_lt_u32 s82, s66                                      // 000000005A2C: BF0A4252
	s_cselect_b32 s20, s36, s60                                // 000000005A30: 85143C24
	v_readlane_b32 s82, v3, 7                                  // 000000005A34: D2890052 00010F03
	s_and_b32 s82, s82, 0xffffff                               // 000000005A3C: 8652FF52 00FFFFFF
	s_cmp_lt_u32 s82, s66                                      // 000000005A44: BF0A4252
	s_cselect_b32 s21, s36, s60                                // 000000005A48: 85153C24
	s_mov_b64 exec, s[20:21]                                   // 000000005A4C: BEFE0114
	global_atomic_add_f32 v6, v63, s[8:9] offset:8             // 000000005A50: DD348008 00083F06
	global_atomic_add_f32 v6, v67, s[8:9] offset:264           // 000000005A58: DD348108 00084306
	s_mov_b64 exec, s[36:37]                                   // 000000005A60: BEFE0124
	v_mov_b32_e32 v6, v46                                      // 000000005A64: 7E0C032E
	s_mov_b64 s[60:61], 0                                      // 000000005A68: BEBC0180
	v_readlane_b32 s82, v3, 8                                  // 000000005A6C: D2890052 00011103
	s_and_b32 s82, s82, 0xffffff                               // 000000005A74: 8652FF52 00FFFFFF
	s_cmp_lt_u32 s82, s66                                      // 000000005A7C: BF0A4252
	s_cselect_b32 s20, s36, s60                                // 000000005A80: 85143C24
	v_readlane_b32 s82, v3, 9                                  // 000000005A84: D2890052 00011303
	s_and_b32 s82, s82, 0xffffff                               // 000000005A8C: 8652FF52 00FFFFFF
	s_cmp_lt_u32 s82, s66                                      // 000000005A94: BF0A4252
	s_cselect_b32 s21, s36, s60                                // 000000005A98: 85153C24
	s_mov_b64 exec, s[20:21]                                   // 000000005A9C: BEFE0114
	global_atomic_add_f32 v6, v70, s[8:9] offset:8             // 000000005AA0: DD348008 00084606
	global_atomic_add_f32 v6, v74, s[8:9] offset:264           // 000000005AA8: DD348108 00084A06
	s_mov_b64 exec, s[36:37]                                   // 000000005AB0: BEFE0124
	v_mov_b32_e32 v6, v47                                      // 000000005AB4: 7E0C032F
	s_mov_b64 s[60:61], 0                                      // 000000005AB8: BEBC0180
	v_readlane_b32 s82, v3, 10                                 // 000000005ABC: D2890052 00011503
	s_and_b32 s82, s82, 0xffffff                               // 000000005AC4: 8652FF52 00FFFFFF
	s_cmp_lt_u32 s82, s66                                      // 000000005ACC: BF0A4252
	s_cselect_b32 s20, s36, s60                                // 000000005AD0: 85143C24
	v_readlane_b32 s82, v3, 11                                 // 000000005AD4: D2890052 00011703
	s_and_b32 s82, s82, 0xffffff                               // 000000005ADC: 8652FF52 00FFFFFF
	s_cmp_lt_u32 s82, s66                                      // 000000005AE4: BF0A4252
	s_cselect_b32 s21, s36, s60                                // 000000005AE8: 85153C24
	s_mov_b64 exec, s[20:21]                                   // 000000005AEC: BEFE0114
	global_atomic_add_f32 v6, v71, s[8:9] offset:8             // 000000005AF0: DD348008 00084706
	global_atomic_add_f32 v6, v75, s[8:9] offset:264           // 000000005AF8: DD348108 00084B06
	s_mov_b64 exec, s[36:37]                                   // 000000005B00: BEFE0124
	ds_write_b64 v20, v[76:77]                                 // 000000005B04: D89A0000 00004C14
	ds_write_b64 v20, v[80:81] offset:4352                     // 000000005B0C: D89A1100 00005014
	ds_write_b64 v20, v[84:85] offset:8704                     // 000000005B14: D89A2200 00005414
	ds_write_b64 v20, v[88:89] offset:2176                     // 000000005B1C: D89A0880 00005814
	ds_write_b64 v20, v[92:93] offset:6528                     // 000000005B24: D89A1980 00005C14
	ds_write_b64 v20, v[96:97] offset:10880                    // 000000005B2C: D89A2A80 00006014
	s_waitcnt lgkmcnt(0)                                       // 000000005B34: BF8CC07F
	s_barrier                                                  // 000000005B38: BF8A0000
	ds_read_b32 v76, v21                                       // 000000005B3C: D86C0000 4C000015
	ds_read_b32 v77, v21 offset:64                             // 000000005B44: D86C0040 4D000015
	ds_read_b32 v80, v21 offset:2176                           // 000000005B4C: D86C0880 50000015
	ds_read_b32 v81, v21 offset:2240                           // 000000005B54: D86C08C0 51000015
	ds_read_b32 v84, v21 offset:4352                           // 000000005B5C: D86C1100 54000015
	ds_read_b32 v85, v21 offset:4416                           // 000000005B64: D86C1140 55000015
	ds_read_b32 v88, v21 offset:6528                           // 000000005B6C: D86C1980 58000015
	ds_read_b32 v89, v21 offset:6592                           // 000000005B74: D86C19C0 59000015
	ds_read_b32 v92, v21 offset:8704                           // 000000005B7C: D86C2200 5C000015
	ds_read_b32 v93, v21 offset:8768                           // 000000005B84: D86C2240 5D000015
	ds_read_b32 v96, v21 offset:10880                          // 000000005B8C: D86C2A80 60000015
	ds_read_b32 v97, v21 offset:10944                          // 000000005B94: D86C2AC0 61000015
	s_mul_i32 s60, s65, 4                                      // 000000005B9C: 923C8441
	s_add_u32 s8, s60, s8                                      // 000000005BA0: 8008083C
	s_addc_u32 s9, 0, s9                                       // 000000005BA4: 82090980
	s_waitcnt lgkmcnt(0)                                       // 000000005BA8: BF8CC07F
	v_mov_b32_e32 v7, 0                                        // 000000005BAC: 7E0E0280
	s_mov_b64 exec, s[36:37]                                   // 000000005BB0: BEFE0124
	v_mov_b32_e32 v6, v42                                      // 000000005BB4: 7E0C032A
	s_mov_b64 s[60:61], 0                                      // 000000005BB8: BEBC0180
	v_readlane_b32 s82, v3, 0                                  // 000000005BBC: D2890052 00010103
	s_and_b32 s82, s82, 0xffffff                               // 000000005BC4: 8652FF52 00FFFFFF
	s_cmp_lt_u32 s82, s66                                      // 000000005BCC: BF0A4252
	s_cselect_b32 s20, s36, s60                                // 000000005BD0: 85143C24
	v_readlane_b32 s82, v3, 1                                  // 000000005BD4: D2890052 00010303
	s_and_b32 s82, s82, 0xffffff                               // 000000005BDC: 8652FF52 00FFFFFF
	s_cmp_lt_u32 s82, s66                                      // 000000005BE4: BF0A4252
	s_cselect_b32 s21, s36, s60                                // 000000005BE8: 85153C24
	s_mov_b64 exec, s[20:21]                                   // 000000005BEC: BEFE0114
	global_atomic_add_f32 v6, v76, s[8:9]                      // 000000005BF0: DD348000 00084C06
	global_atomic_add_f32 v6, v80, s[8:9] offset:256           // 000000005BF8: DD348100 00085006
	s_mov_b64 exec, s[36:37]                                   // 000000005C00: BEFE0124
	v_mov_b32_e32 v6, v43                                      // 000000005C04: 7E0C032B
	s_mov_b64 s[60:61], 0                                      // 000000005C08: BEBC0180
	v_readlane_b32 s82, v3, 2                                  // 000000005C0C: D2890052 00010503
	s_and_b32 s82, s82, 0xffffff                               // 000000005C14: 8652FF52 00FFFFFF
	s_cmp_lt_u32 s82, s66                                      // 000000005C1C: BF0A4252
	s_cselect_b32 s20, s36, s60                                // 000000005C20: 85143C24
	v_readlane_b32 s82, v3, 3                                  // 000000005C24: D2890052 00010703
	s_and_b32 s82, s82, 0xffffff                               // 000000005C2C: 8652FF52 00FFFFFF
	s_cmp_lt_u32 s82, s66                                      // 000000005C34: BF0A4252
	s_cselect_b32 s21, s36, s60                                // 000000005C38: 85153C24
	s_mov_b64 exec, s[20:21]                                   // 000000005C3C: BEFE0114
	global_atomic_add_f32 v6, v77, s[8:9]                      // 000000005C40: DD348000 00084D06
	global_atomic_add_f32 v6, v81, s[8:9] offset:256           // 000000005C48: DD348100 00085106
	s_mov_b64 exec, s[36:37]                                   // 000000005C50: BEFE0124
	v_mov_b32_e32 v6, v44                                      // 000000005C54: 7E0C032C
	s_mov_b64 s[60:61], 0                                      // 000000005C58: BEBC0180
	v_readlane_b32 s82, v3, 4                                  // 000000005C5C: D2890052 00010903
	s_and_b32 s82, s82, 0xffffff                               // 000000005C64: 8652FF52 00FFFFFF
	s_cmp_lt_u32 s82, s66                                      // 000000005C6C: BF0A4252
	s_cselect_b32 s20, s36, s60                                // 000000005C70: 85143C24
	v_readlane_b32 s82, v3, 5                                  // 000000005C74: D2890052 00010B03
	s_and_b32 s82, s82, 0xffffff                               // 000000005C7C: 8652FF52 00FFFFFF
	s_cmp_lt_u32 s82, s66                                      // 000000005C84: BF0A4252
	s_cselect_b32 s21, s36, s60                                // 000000005C88: 85153C24
	s_mov_b64 exec, s[20:21]                                   // 000000005C8C: BEFE0114
	global_atomic_add_f32 v6, v84, s[8:9]                      // 000000005C90: DD348000 00085406
	global_atomic_add_f32 v6, v88, s[8:9] offset:256           // 000000005C98: DD348100 00085806
	s_mov_b64 exec, s[36:37]                                   // 000000005CA0: BEFE0124
	v_mov_b32_e32 v6, v45                                      // 000000005CA4: 7E0C032D
	s_mov_b64 s[60:61], 0                                      // 000000005CA8: BEBC0180
	v_readlane_b32 s82, v3, 6                                  // 000000005CAC: D2890052 00010D03
	s_and_b32 s82, s82, 0xffffff                               // 000000005CB4: 8652FF52 00FFFFFF
	s_cmp_lt_u32 s82, s66                                      // 000000005CBC: BF0A4252
	s_cselect_b32 s20, s36, s60                                // 000000005CC0: 85143C24
	v_readlane_b32 s82, v3, 7                                  // 000000005CC4: D2890052 00010F03
	s_and_b32 s82, s82, 0xffffff                               // 000000005CCC: 8652FF52 00FFFFFF
	s_cmp_lt_u32 s82, s66                                      // 000000005CD4: BF0A4252
	s_cselect_b32 s21, s36, s60                                // 000000005CD8: 85153C24
	s_mov_b64 exec, s[20:21]                                   // 000000005CDC: BEFE0114
	global_atomic_add_f32 v6, v85, s[8:9]                      // 000000005CE0: DD348000 00085506
	global_atomic_add_f32 v6, v89, s[8:9] offset:256           // 000000005CE8: DD348100 00085906
	s_mov_b64 exec, s[36:37]                                   // 000000005CF0: BEFE0124
	v_mov_b32_e32 v6, v46                                      // 000000005CF4: 7E0C032E
	s_mov_b64 s[60:61], 0                                      // 000000005CF8: BEBC0180
	v_readlane_b32 s82, v3, 8                                  // 000000005CFC: D2890052 00011103
	s_and_b32 s82, s82, 0xffffff                               // 000000005D04: 8652FF52 00FFFFFF
	s_cmp_lt_u32 s82, s66                                      // 000000005D0C: BF0A4252
	s_cselect_b32 s20, s36, s60                                // 000000005D10: 85143C24
	v_readlane_b32 s82, v3, 9                                  // 000000005D14: D2890052 00011303
	s_and_b32 s82, s82, 0xffffff                               // 000000005D1C: 8652FF52 00FFFFFF
	s_cmp_lt_u32 s82, s66                                      // 000000005D24: BF0A4252
	s_cselect_b32 s21, s36, s60                                // 000000005D28: 85153C24
	s_mov_b64 exec, s[20:21]                                   // 000000005D2C: BEFE0114
	global_atomic_add_f32 v6, v92, s[8:9]                      // 000000005D30: DD348000 00085C06
	global_atomic_add_f32 v6, v96, s[8:9] offset:256           // 000000005D38: DD348100 00086006
	s_mov_b64 exec, s[36:37]                                   // 000000005D40: BEFE0124
	v_mov_b32_e32 v6, v47                                      // 000000005D44: 7E0C032F
	s_mov_b64 s[60:61], 0                                      // 000000005D48: BEBC0180
	v_readlane_b32 s82, v3, 10                                 // 000000005D4C: D2890052 00011503
	s_and_b32 s82, s82, 0xffffff                               // 000000005D54: 8652FF52 00FFFFFF
	s_cmp_lt_u32 s82, s66                                      // 000000005D5C: BF0A4252
	s_cselect_b32 s20, s36, s60                                // 000000005D60: 85143C24
	v_readlane_b32 s82, v3, 11                                 // 000000005D64: D2890052 00011703
	s_and_b32 s82, s82, 0xffffff                               // 000000005D6C: 8652FF52 00FFFFFF
	s_cmp_lt_u32 s82, s66                                      // 000000005D74: BF0A4252
	s_cselect_b32 s21, s36, s60                                // 000000005D78: 85153C24
	s_mov_b64 exec, s[20:21]                                   // 000000005D7C: BEFE0114
	global_atomic_add_f32 v6, v93, s[8:9]                      // 000000005D80: DD348000 00085D06
	global_atomic_add_f32 v6, v97, s[8:9] offset:256           // 000000005D88: DD348100 00086106
	s_mov_b64 exec, s[36:37]                                   // 000000005D90: BEFE0124
	ds_write_b64 v20, v[78:79]                                 // 000000005D94: D89A0000 00004E14
	ds_write_b64 v20, v[82:83] offset:4352                     // 000000005D9C: D89A1100 00005214
	ds_write_b64 v20, v[86:87] offset:8704                     // 000000005DA4: D89A2200 00005614
	ds_write_b64 v20, v[90:91] offset:2176                     // 000000005DAC: D89A0880 00005A14
	ds_write_b64 v20, v[94:95] offset:6528                     // 000000005DB4: D89A1980 00005E14
	ds_write_b64 v20, v[98:99] offset:10880                    // 000000005DBC: D89A2A80 00006214
	s_waitcnt lgkmcnt(0)                                       // 000000005DC4: BF8CC07F
	s_barrier                                                  // 000000005DC8: BF8A0000
	ds_read_b32 v78, v21                                       // 000000005DCC: D86C0000 4E000015
	ds_read_b32 v79, v21 offset:64                             // 000000005DD4: D86C0040 4F000015
	ds_read_b32 v82, v21 offset:2176                           // 000000005DDC: D86C0880 52000015
	ds_read_b32 v83, v21 offset:2240                           // 000000005DE4: D86C08C0 53000015
	ds_read_b32 v86, v21 offset:4352                           // 000000005DEC: D86C1100 56000015
	ds_read_b32 v87, v21 offset:4416                           // 000000005DF4: D86C1140 57000015
	ds_read_b32 v90, v21 offset:6528                           // 000000005DFC: D86C1980 5A000015
	ds_read_b32 v91, v21 offset:6592                           // 000000005E04: D86C19C0 5B000015
	ds_read_b32 v94, v21 offset:8704                           // 000000005E0C: D86C2200 5E000015
	ds_read_b32 v95, v21 offset:8768                           // 000000005E14: D86C2240 5F000015
	ds_read_b32 v98, v21 offset:10880                          // 000000005E1C: D86C2A80 62000015
	ds_read_b32 v99, v21 offset:10944                          // 000000005E24: D86C2AC0 63000015
	s_waitcnt lgkmcnt(0)                                       // 000000005E2C: BF8CC07F
	v_mov_b32_e32 v7, 0                                        // 000000005E30: 7E0E0280
	s_mov_b64 exec, s[36:37]                                   // 000000005E34: BEFE0124
	v_mov_b32_e32 v6, v42                                      // 000000005E38: 7E0C032A
	s_mov_b64 s[60:61], 0                                      // 000000005E3C: BEBC0180
	v_readlane_b32 s82, v3, 0                                  // 000000005E40: D2890052 00010103
	s_and_b32 s82, s82, 0xffffff                               // 000000005E48: 8652FF52 00FFFFFF
	s_cmp_lt_u32 s82, s66                                      // 000000005E50: BF0A4252
	s_cselect_b32 s20, s36, s60                                // 000000005E54: 85143C24
	v_readlane_b32 s82, v3, 1                                  // 000000005E58: D2890052 00010303
	s_and_b32 s82, s82, 0xffffff                               // 000000005E60: 8652FF52 00FFFFFF
	s_cmp_lt_u32 s82, s66                                      // 000000005E68: BF0A4252
	s_cselect_b32 s21, s36, s60                                // 000000005E6C: 85153C24
	s_mov_b64 exec, s[20:21]                                   // 000000005E70: BEFE0114
	global_atomic_add_f32 v6, v78, s[8:9] offset:8             // 000000005E74: DD348008 00084E06
	global_atomic_add_f32 v6, v82, s[8:9] offset:264           // 000000005E7C: DD348108 00085206
	s_mov_b64 exec, s[36:37]                                   // 000000005E84: BEFE0124
	v_mov_b32_e32 v6, v43                                      // 000000005E88: 7E0C032B
	s_mov_b64 s[60:61], 0                                      // 000000005E8C: BEBC0180
	v_readlane_b32 s82, v3, 2                                  // 000000005E90: D2890052 00010503
	s_and_b32 s82, s82, 0xffffff                               // 000000005E98: 8652FF52 00FFFFFF
	s_cmp_lt_u32 s82, s66                                      // 000000005EA0: BF0A4252
	s_cselect_b32 s20, s36, s60                                // 000000005EA4: 85143C24
	v_readlane_b32 s82, v3, 3                                  // 000000005EA8: D2890052 00010703
	s_and_b32 s82, s82, 0xffffff                               // 000000005EB0: 8652FF52 00FFFFFF
	s_cmp_lt_u32 s82, s66                                      // 000000005EB8: BF0A4252
	s_cselect_b32 s21, s36, s60                                // 000000005EBC: 85153C24
	s_mov_b64 exec, s[20:21]                                   // 000000005EC0: BEFE0114
	global_atomic_add_f32 v6, v79, s[8:9] offset:8             // 000000005EC4: DD348008 00084F06
	global_atomic_add_f32 v6, v83, s[8:9] offset:264           // 000000005ECC: DD348108 00085306
	s_mov_b64 exec, s[36:37]                                   // 000000005ED4: BEFE0124
	v_mov_b32_e32 v6, v44                                      // 000000005ED8: 7E0C032C
	s_mov_b64 s[60:61], 0                                      // 000000005EDC: BEBC0180
	v_readlane_b32 s82, v3, 4                                  // 000000005EE0: D2890052 00010903
	s_and_b32 s82, s82, 0xffffff                               // 000000005EE8: 8652FF52 00FFFFFF
	s_cmp_lt_u32 s82, s66                                      // 000000005EF0: BF0A4252
	s_cselect_b32 s20, s36, s60                                // 000000005EF4: 85143C24
	v_readlane_b32 s82, v3, 5                                  // 000000005EF8: D2890052 00010B03
	s_and_b32 s82, s82, 0xffffff                               // 000000005F00: 8652FF52 00FFFFFF
	s_cmp_lt_u32 s82, s66                                      // 000000005F08: BF0A4252
	s_cselect_b32 s21, s36, s60                                // 000000005F0C: 85153C24
	s_mov_b64 exec, s[20:21]                                   // 000000005F10: BEFE0114
	global_atomic_add_f32 v6, v86, s[8:9] offset:8             // 000000005F14: DD348008 00085606
	global_atomic_add_f32 v6, v90, s[8:9] offset:264           // 000000005F1C: DD348108 00085A06
	s_mov_b64 exec, s[36:37]                                   // 000000005F24: BEFE0124
	v_mov_b32_e32 v6, v45                                      // 000000005F28: 7E0C032D
	s_mov_b64 s[60:61], 0                                      // 000000005F2C: BEBC0180
	v_readlane_b32 s82, v3, 6                                  // 000000005F30: D2890052 00010D03
	s_and_b32 s82, s82, 0xffffff                               // 000000005F38: 8652FF52 00FFFFFF
	s_cmp_lt_u32 s82, s66                                      // 000000005F40: BF0A4252
	s_cselect_b32 s20, s36, s60                                // 000000005F44: 85143C24
	v_readlane_b32 s82, v3, 7                                  // 000000005F48: D2890052 00010F03
	s_and_b32 s82, s82, 0xffffff                               // 000000005F50: 8652FF52 00FFFFFF
	s_cmp_lt_u32 s82, s66                                      // 000000005F58: BF0A4252
	s_cselect_b32 s21, s36, s60                                // 000000005F5C: 85153C24
	s_mov_b64 exec, s[20:21]                                   // 000000005F60: BEFE0114
	global_atomic_add_f32 v6, v87, s[8:9] offset:8             // 000000005F64: DD348008 00085706
	global_atomic_add_f32 v6, v91, s[8:9] offset:264           // 000000005F6C: DD348108 00085B06
	s_mov_b64 exec, s[36:37]                                   // 000000005F74: BEFE0124
	v_mov_b32_e32 v6, v46                                      // 000000005F78: 7E0C032E
	s_mov_b64 s[60:61], 0                                      // 000000005F7C: BEBC0180
	v_readlane_b32 s82, v3, 8                                  // 000000005F80: D2890052 00011103
	s_and_b32 s82, s82, 0xffffff                               // 000000005F88: 8652FF52 00FFFFFF
	s_cmp_lt_u32 s82, s66                                      // 000000005F90: BF0A4252
	s_cselect_b32 s20, s36, s60                                // 000000005F94: 85143C24
	v_readlane_b32 s82, v3, 9                                  // 000000005F98: D2890052 00011303
	s_and_b32 s82, s82, 0xffffff                               // 000000005FA0: 8652FF52 00FFFFFF
	s_cmp_lt_u32 s82, s66                                      // 000000005FA8: BF0A4252
	s_cselect_b32 s21, s36, s60                                // 000000005FAC: 85153C24
	s_mov_b64 exec, s[20:21]                                   // 000000005FB0: BEFE0114
	global_atomic_add_f32 v6, v94, s[8:9] offset:8             // 000000005FB4: DD348008 00085E06
	global_atomic_add_f32 v6, v98, s[8:9] offset:264           // 000000005FBC: DD348108 00086206
	s_mov_b64 exec, s[36:37]                                   // 000000005FC4: BEFE0124
	v_mov_b32_e32 v6, v47                                      // 000000005FC8: 7E0C032F
	s_mov_b64 s[60:61], 0                                      // 000000005FCC: BEBC0180
	v_readlane_b32 s82, v3, 10                                 // 000000005FD0: D2890052 00011503
	s_and_b32 s82, s82, 0xffffff                               // 000000005FD8: 8652FF52 00FFFFFF
	s_cmp_lt_u32 s82, s66                                      // 000000005FE0: BF0A4252
	s_cselect_b32 s20, s36, s60                                // 000000005FE4: 85143C24
	v_readlane_b32 s82, v3, 11                                 // 000000005FE8: D2890052 00011703
	s_and_b32 s82, s82, 0xffffff                               // 000000005FF0: 8652FF52 00FFFFFF
	s_cmp_lt_u32 s82, s66                                      // 000000005FF8: BF0A4252
	s_cselect_b32 s21, s36, s60                                // 000000005FFC: 85153C24
	s_mov_b64 exec, s[20:21]                                   // 000000006000: BEFE0114
	global_atomic_add_f32 v6, v95, s[8:9] offset:8             // 000000006004: DD348008 00085F06
	global_atomic_add_f32 v6, v99, s[8:9] offset:264           // 00000000600C: DD348108 00086306
	s_mov_b64 exec, s[36:37]                                   // 000000006014: BEFE0124
	s_branch label_18DF                                        // 000000006018: BF820B55

000000000000601c <label_0D8A>:
	s_waitcnt vmcnt(10) lgkmcnt(0)                             // 00000000601C: BF8C007A
	v_mfma_f32_16x16x32_fp8_fp8 v[52:55], a[48:49], a[0:1], v[52:55]// 000000006020: D3F30034 1CD20130
	buffer_load_dwordx4 a[80:83], v48, s[24:27], 0 offen       // 000000006028: E05C1000 80865030
	v_mfma_f32_16x16x32_fp8_fp8 v[52:55], a[50:51], a[2:3], v[52:55]// 000000006030: D3F30034 1CD20532
	v_mfma_f32_16x16x32_fp8_fp8 v[52:55], a[52:53], a[4:5], v[52:55]// 000000006038: D3F30034 1CD20934
	v_mfma_f32_16x16x32_fp8_fp8 v[52:55], a[54:55], a[6:7], v[52:55]// 000000006040: D3F30034 1CD20D36
	v_mfma_f32_16x16x32_fp8_fp8 v[64:67], a[56:57], a[0:1], v[64:67]// 000000006048: D3F30040 1D020138
	buffer_load_dwordx4 a[84:87], v48, s[24:27], 0 offen offset:1024// 000000006050: E05C1400 80865430
	v_mfma_f32_16x16x32_fp8_fp8 v[64:67], a[58:59], a[2:3], v[64:67]// 000000006058: D3F30040 1D02053A
	v_mfma_f32_16x16x32_fp8_fp8 v[64:67], a[60:61], a[4:5], v[64:67]// 000000006060: D3F30040 1D02093C
	v_mfma_f32_16x16x32_fp8_fp8 v[64:67], a[62:63], a[6:7], v[64:67]// 000000006068: D3F30040 1D020D3E
	v_mfma_f32_16x16x32_fp8_fp8 v[56:59], a[48:49], a[8:9], v[56:59]// 000000006070: D3F30038 1CE21130
	buffer_load_dwordx4 a[88:91], v49, s[24:27], 0 offen       // 000000006078: E05C1000 80865831
	v_mfma_f32_16x16x32_fp8_fp8 v[56:59], a[50:51], a[10:11], v[56:59]// 000000006080: D3F30038 1CE21532
	v_mfma_f32_16x16x32_fp8_fp8 v[56:59], a[52:53], a[12:13], v[56:59]// 000000006088: D3F30038 1CE21934
	v_mfma_f32_16x16x32_fp8_fp8 v[56:59], a[54:55], a[14:15], v[56:59]// 000000006090: D3F30038 1CE21D36
	v_mfma_f32_16x16x32_fp8_fp8 v[68:71], a[56:57], a[8:9], v[68:71]// 000000006098: D3F30044 1D121138
	buffer_load_dwordx4 a[92:95], v49, s[24:27], 0 offen offset:1024// 0000000060A0: E05C1400 80865C31
	buffer_load_dword v42, s[20:23], 0 offen lds               // 0000000060A8: E0511000 8005002A
	s_add_u32 m0, 0x100, s50                                   // 0000000060B0: 807C32FF 00000100
	v_mfma_f32_16x16x32_fp8_fp8 v[68:71], a[58:59], a[10:11], v[68:71]// 0000000060B8: D3F30044 1D12153A
	v_mfma_f32_16x16x32_fp8_fp8 v[68:71], a[60:61], a[12:13], v[68:71]// 0000000060C0: D3F30044 1D12193C
	buffer_load_dword v43, s[20:23], 0 offen lds               // 0000000060C8: E0511000 8005002B
	s_add_u32 m0, 0x200, s50                                   // 0000000060D0: 807C32FF 00000200
	v_mfma_f32_16x16x32_fp8_fp8 v[68:71], a[62:63], a[14:15], v[68:71]// 0000000060D8: D3F30044 1D121D3E
	v_mfma_f32_16x16x32_fp8_fp8 v[60:63], a[48:49], a[16:17], v[60:63]// 0000000060E0: D3F3003C 1CF22130
	buffer_load_dword v44, s[20:23], 0 offen lds               // 0000000060E8: E0511000 8005002C
	s_add_u32 m0, 0x300, s50                                   // 0000000060F0: 807C32FF 00000300
	v_mfma_f32_16x16x32_fp8_fp8 v[60:63], a[50:51], a[18:19], v[60:63]// 0000000060F8: D3F3003C 1CF22532
	v_mfma_f32_16x16x32_fp8_fp8 v[60:63], a[52:53], a[20:21], v[60:63]// 000000006100: D3F3003C 1CF22934
	buffer_load_dword v45, s[20:23], 0 offen lds               // 000000006108: E0511000 8005002D
	s_add_u32 m0, 0x400, s50                                   // 000000006110: 807C32FF 00000400
	v_mfma_f32_16x16x32_fp8_fp8 v[60:63], a[54:55], a[22:23], v[60:63]// 000000006118: D3F3003C 1CF22D36
	v_mfma_f32_16x16x32_fp8_fp8 v[72:75], a[56:57], a[16:17], v[72:75]// 000000006120: D3F30048 1D222138
	buffer_load_dword v46, s[20:23], 0 offen lds               // 000000006128: E0511000 8005002E
	s_add_u32 m0, 0x500, s50                                   // 000000006130: 807C32FF 00000500
	v_mfma_f32_16x16x32_fp8_fp8 v[72:75], a[58:59], a[18:19], v[72:75]// 000000006138: D3F30048 1D22253A
	v_mfma_f32_16x16x32_fp8_fp8 v[72:75], a[60:61], a[20:21], v[72:75]// 000000006140: D3F30048 1D22293C
	buffer_load_dword v47, s[20:23], 0 offen lds               // 000000006148: E0511000 8005002F
	s_add_u32 m0, 0, s48                                       // 000000006150: 807C3080
	v_mfma_f32_16x16x32_fp8_fp8 v[72:75], a[62:63], a[22:23], v[72:75]// 000000006154: D3F30048 1D222D3E
	s_waitcnt vmcnt(10)                                        // 00000000615C: BF8C0F7A
	s_barrier                                                  // 000000006160: BF8A0000
	v_mfma_f32_16x16x32_fp8_fp8 v[76:79], a[64:65], a[0:1], v[76:79]// 000000006164: D3F3004C 1D320140
	buffer_load_dwordx4 a[48:51], v48, s[84:87], 0 offen       // 00000000616C: E05C1000 80953030
	v_mfma_f32_16x16x32_fp8_fp8 v[76:79], a[66:67], a[2:3], v[76:79]// 000000006174: D3F3004C 1D320542
	v_mfma_f32_16x16x32_fp8_fp8 v[76:79], a[68:69], a[4:5], v[76:79]// 00000000617C: D3F3004C 1D320944
	ds_read_b128 a[24:27], v2 offset:6272                      // 000000006184: DBFE1880 18000002
	ds_read_b128 a[28:31], v2 offset:6336                      // 00000000618C: DBFE18C0 1C000002
	v_mfma_f32_16x16x32_fp8_fp8 v[76:79], a[70:71], a[6:7], v[76:79]// 000000006194: D3F3004C 1D320D46
	v_mfma_f32_16x16x32_fp8_fp8 v[88:91], a[72:73], a[0:1], v[88:91]// 00000000619C: D3F30058 1D620148
	buffer_load_dwordx4 a[52:55], v48, s[84:87], 0 offen offset:1024// 0000000061A4: E05C1400 80953430
	v_mfma_f32_16x16x32_fp8_fp8 v[88:91], a[74:75], a[2:3], v[88:91]// 0000000061AC: D3F30058 1D62054A
	v_mfma_f32_16x16x32_fp8_fp8 v[88:91], a[76:77], a[4:5], v[88:91]// 0000000061B4: D3F30058 1D62094C
	ds_read_b128 a[32:35], v2 offset:6784                      // 0000000061BC: DBFE1A80 20000002
	ds_read_b128 a[36:39], v2 offset:6848                      // 0000000061C4: DBFE1AC0 24000002
	v_mfma_f32_16x16x32_fp8_fp8 v[88:91], a[78:79], a[6:7], v[88:91]// 0000000061CC: D3F30058 1D620D4E
	v_mfma_f32_16x16x32_fp8_fp8 v[80:83], a[64:65], a[8:9], v[80:83]// 0000000061D4: D3F30050 1D421140
	buffer_load_dwordx4 a[56:59], v49, s[84:87], 0 offen       // 0000000061DC: E05C1000 80953831
	v_mfma_f32_16x16x32_fp8_fp8 v[80:83], a[66:67], a[10:11], v[80:83]// 0000000061E4: D3F30050 1D421542
	v_mfma_f32_16x16x32_fp8_fp8 v[80:83], a[68:69], a[12:13], v[80:83]// 0000000061EC: D3F30050 1D421944
	ds_read_b128 a[40:43], v2 offset:7296                      // 0000000061F4: DBFE1C80 28000002
	ds_read_b128 a[44:47], v2 offset:7360                      // 0000000061FC: DBFE1CC0 2C000002
	v_mfma_f32_16x16x32_fp8_fp8 v[80:83], a[70:71], a[14:15], v[80:83]// 000000006204: D3F30050 1D421D46
	v_mfma_f32_16x16x32_fp8_fp8 v[92:95], a[72:73], a[8:9], v[92:95]// 00000000620C: D3F3005C 1D721148
	buffer_load_dwordx4 a[60:63], v49, s[84:87], 0 offen offset:1024// 000000006214: E05C1400 80953C31
	v_mfma_f32_16x16x32_fp8_fp8 v[92:95], a[74:75], a[10:11], v[92:95]// 00000000621C: D3F3005C 1D72154A
	v_mfma_f32_16x16x32_fp8_fp8 v[92:95], a[76:77], a[12:13], v[92:95]// 000000006224: D3F3005C 1D72194C
	v_mfma_f32_16x16x32_fp8_fp8 v[92:95], a[78:79], a[14:15], v[92:95]// 00000000622C: D3F3005C 1D721D4E
	v_mfma_f32_16x16x32_fp8_fp8 v[84:87], a[64:65], a[16:17], v[84:87]// 000000006234: D3F30054 1D522140
	s_add_u32 s60, 0x180, s80                                  // 00000000623C: 803C50FF 00000180
	s_cmp_lt_u32 s60, s81                                      // 000000006244: BF0A513C
	s_cselect_b32 s57, s57, 0                                  // 000000006248: 85398039
	v_mfma_f32_16x16x32_fp8_fp8 v[84:87], a[66:67], a[18:19], v[84:87]// 00000000624C: D3F30054 1D522542
	s_add_u32 s60, 0x100, s80                                  // 000000006254: 803C50FF 00000100
	s_cmp_lt_u32 s60, s81                                      // 00000000625C: BF0A513C
	s_cselect_b32 s58, s58, 0                                  // 000000006260: 853A803A
	v_mfma_f32_16x16x32_fp8_fp8 v[84:87], a[68:69], a[20:21], v[84:87]// 000000006264: D3F30054 1D522944
	s_add_u32 s60, 0x100, s80                                  // 00000000626C: 803C50FF 00000100
	s_cmp_lt_u32 s60, s81                                      // 000000006274: BF0A513C
	s_cselect_b32 s83, s83, 0                                  // 000000006278: 85538053
	v_mfma_f32_16x16x32_fp8_fp8 v[84:87], a[70:71], a[22:23], v[84:87]// 00000000627C: D3F30054 1D522D46
	s_add_u32 s24, s58, s24                                    // 000000006284: 8018183A
	s_addc_u32 s25, 0, s25                                     // 000000006288: 82191980
	v_mfma_f32_16x16x32_fp8_fp8 v[96:99], a[72:73], a[16:17], v[96:99]// 00000000628C: D3F30060 1D822148
	s_add_u32 s20, s57, s20                                    // 000000006294: 80141439
	s_addc_u32 s21, 0, s21                                     // 000000006298: 82151580
	v_mfma_f32_16x16x32_fp8_fp8 v[96:99], a[74:75], a[18:19], v[96:99]// 00000000629C: D3F30060 1D82254A
	s_add_u32 s84, s83, s84                                    // 0000000062A4: 80545453
	s_addc_u32 s85, 0, s85                                     // 0000000062A8: 82555580
	v_mfma_f32_16x16x32_fp8_fp8 v[96:99], a[76:77], a[20:21], v[96:99]// 0000000062AC: D3F30060 1D82294C
	v_mfma_f32_16x16x32_fp8_fp8 v[96:99], a[78:79], a[22:23], v[96:99]// 0000000062B4: D3F30060 1D822D4E
	s_addk_i32 s80, 0x80                                       // 0000000062BC: B7500080
	s_cmp_lt_i32 s80, s81                                      // 0000000062C0: BF045150
	s_cbranch_scc0 label_118D                                  // 0000000062C4: BF840358
	s_waitcnt vmcnt(10) lgkmcnt(0)                             // 0000000062C8: BF8C007A
	v_mfma_f32_16x16x32_fp8_fp8 v[52:55], a[80:81], a[24:25], v[52:55]// 0000000062CC: D3F30034 1CD23150
	buffer_load_dwordx4 a[64:67], v48, s[24:27], 0 offen       // 0000000062D4: E05C1000 80864030
	v_mfma_f32_16x16x32_fp8_fp8 v[52:55], a[82:83], a[26:27], v[52:55]// 0000000062DC: D3F30034 1CD23552
	v_mfma_f32_16x16x32_fp8_fp8 v[52:55], a[84:85], a[28:29], v[52:55]// 0000000062E4: D3F30034 1CD23954
	v_mfma_f32_16x16x32_fp8_fp8 v[52:55], a[86:87], a[30:31], v[52:55]// 0000000062EC: D3F30034 1CD23D56
	v_mfma_f32_16x16x32_fp8_fp8 v[64:67], a[88:89], a[24:25], v[64:67]// 0000000062F4: D3F30040 1D023158
	buffer_load_dwordx4 a[68:71], v48, s[24:27], 0 offen offset:1024// 0000000062FC: E05C1400 80864430
	v_mfma_f32_16x16x32_fp8_fp8 v[64:67], a[90:91], a[26:27], v[64:67]// 000000006304: D3F30040 1D02355A
	v_mfma_f32_16x16x32_fp8_fp8 v[64:67], a[92:93], a[28:29], v[64:67]// 00000000630C: D3F30040 1D02395C
	v_mfma_f32_16x16x32_fp8_fp8 v[64:67], a[94:95], a[30:31], v[64:67]// 000000006314: D3F30040 1D023D5E
	v_mfma_f32_16x16x32_fp8_fp8 v[56:59], a[80:81], a[32:33], v[56:59]// 00000000631C: D3F30038 1CE24150
	buffer_load_dwordx4 a[72:75], v49, s[24:27], 0 offen       // 000000006324: E05C1000 80864831
	v_mfma_f32_16x16x32_fp8_fp8 v[56:59], a[82:83], a[34:35], v[56:59]// 00000000632C: D3F30038 1CE24552
	v_mfma_f32_16x16x32_fp8_fp8 v[56:59], a[84:85], a[36:37], v[56:59]// 000000006334: D3F30038 1CE24954
	v_mfma_f32_16x16x32_fp8_fp8 v[56:59], a[86:87], a[38:39], v[56:59]// 00000000633C: D3F30038 1CE24D56
	v_mfma_f32_16x16x32_fp8_fp8 v[68:71], a[88:89], a[32:33], v[68:71]// 000000006344: D3F30044 1D124158
	buffer_load_dwordx4 a[76:79], v49, s[24:27], 0 offen offset:1024// 00000000634C: E05C1400 80864C31
	buffer_load_dword v42, s[20:23], 0 offen lds               // 000000006354: E0511000 8005002A
	s_add_u32 m0, 0x100, s48                                   // 00000000635C: 807C30FF 00000100
	v_mfma_f32_16x16x32_fp8_fp8 v[68:71], a[90:91], a[34:35], v[68:71]// 000000006364: D3F30044 1D12455A
	v_mfma_f32_16x16x32_fp8_fp8 v[68:71], a[92:93], a[36:37], v[68:71]// 00000000636C: D3F30044 1D12495C
	buffer_load_dword v43, s[20:23], 0 offen lds               // 000000006374: E0511000 8005002B
	s_add_u32 m0, 0x200, s48                                   // 00000000637C: 807C30FF 00000200
	v_mfma_f32_16x16x32_fp8_fp8 v[68:71], a[94:95], a[38:39], v[68:71]// 000000006384: D3F30044 1D124D5E
	v_mfma_f32_16x16x32_fp8_fp8 v[60:63], a[80:81], a[40:41], v[60:63]// 00000000638C: D3F3003C 1CF25150
	buffer_load_dword v44, s[20:23], 0 offen lds               // 000000006394: E0511000 8005002C
	s_add_u32 m0, 0x300, s48                                   // 00000000639C: 807C30FF 00000300
	v_mfma_f32_16x16x32_fp8_fp8 v[60:63], a[82:83], a[42:43], v[60:63]// 0000000063A4: D3F3003C 1CF25552
	v_mfma_f32_16x16x32_fp8_fp8 v[60:63], a[84:85], a[44:45], v[60:63]// 0000000063AC: D3F3003C 1CF25954
	buffer_load_dword v45, s[20:23], 0 offen lds               // 0000000063B4: E0511000 8005002D
	s_add_u32 m0, 0x400, s48                                   // 0000000063BC: 807C30FF 00000400
	v_mfma_f32_16x16x32_fp8_fp8 v[60:63], a[86:87], a[46:47], v[60:63]// 0000000063C4: D3F3003C 1CF25D56
	v_mfma_f32_16x16x32_fp8_fp8 v[72:75], a[88:89], a[40:41], v[72:75]// 0000000063CC: D3F30048 1D225158
	buffer_load_dword v46, s[20:23], 0 offen lds               // 0000000063D4: E0511000 8005002E
	s_add_u32 m0, 0x500, s48                                   // 0000000063DC: 807C30FF 00000500
	v_mfma_f32_16x16x32_fp8_fp8 v[72:75], a[90:91], a[42:43], v[72:75]// 0000000063E4: D3F30048 1D22555A
	v_mfma_f32_16x16x32_fp8_fp8 v[72:75], a[92:93], a[44:45], v[72:75]// 0000000063EC: D3F30048 1D22595C
	buffer_load_dword v47, s[20:23], 0 offen lds               // 0000000063F4: E0511000 8005002F
	s_add_u32 m0, 0, s49                                       // 0000000063FC: 807C3180
	v_mfma_f32_16x16x32_fp8_fp8 v[72:75], a[94:95], a[46:47], v[72:75]// 000000006400: D3F30048 1D225D5E
	s_waitcnt vmcnt(10)                                        // 000000006408: BF8C0F7A
	s_barrier                                                  // 00000000640C: BF8A0000
	v_mfma_f32_16x16x32_fp8_fp8 v[76:79], a[48:49], a[24:25], v[76:79]// 000000006410: D3F3004C 1D323130
	buffer_load_dwordx4 a[80:83], v48, s[84:87], 0 offen       // 000000006418: E05C1000 80955030
	v_mfma_f32_16x16x32_fp8_fp8 v[76:79], a[50:51], a[26:27], v[76:79]// 000000006420: D3F3004C 1D323532
	v_mfma_f32_16x16x32_fp8_fp8 v[76:79], a[52:53], a[28:29], v[76:79]// 000000006428: D3F3004C 1D323934
	ds_read_b128 a[0:3], v2 offset:12544                       // 000000006430: DBFE3100 00000002
	ds_read_b128 a[4:7], v2 offset:12608                       // 000000006438: DBFE3140 04000002
	v_mfma_f32_16x16x32_fp8_fp8 v[76:79], a[54:55], a[30:31], v[76:79]// 000000006440: D3F3004C 1D323D36
	v_mfma_f32_16x16x32_fp8_fp8 v[88:91], a[56:57], a[24:25], v[88:91]// 000000006448: D3F30058 1D623138
	buffer_load_dwordx4 a[84:87], v48, s[84:87], 0 offen offset:1024// 000000006450: E05C1400 80955430
	v_mfma_f32_16x16x32_fp8_fp8 v[88:91], a[58:59], a[26:27], v[88:91]// 000000006458: D3F30058 1D62353A
	v_mfma_f32_16x16x32_fp8_fp8 v[88:91], a[60:61], a[28:29], v[88:91]// 000000006460: D3F30058 1D62393C
	ds_read_b128 a[8:11], v2 offset:13056                      // 000000006468: DBFE3300 08000002
	ds_read_b128 a[12:15], v2 offset:13120                     // 000000006470: DBFE3340 0C000002
	v_mfma_f32_16x16x32_fp8_fp8 v[88:91], a[62:63], a[30:31], v[88:91]// 000000006478: D3F30058 1D623D3E
	v_mfma_f32_16x16x32_fp8_fp8 v[80:83], a[48:49], a[32:33], v[80:83]// 000000006480: D3F30050 1D424130
	buffer_load_dwordx4 a[88:91], v49, s[84:87], 0 offen       // 000000006488: E05C1000 80955831
	v_mfma_f32_16x16x32_fp8_fp8 v[80:83], a[50:51], a[34:35], v[80:83]// 000000006490: D3F30050 1D424532
	v_mfma_f32_16x16x32_fp8_fp8 v[80:83], a[52:53], a[36:37], v[80:83]// 000000006498: D3F30050 1D424934
	ds_read_b128 a[16:19], v2 offset:13568                     // 0000000064A0: DBFE3500 10000002
	ds_read_b128 a[20:23], v2 offset:13632                     // 0000000064A8: DBFE3540 14000002
	v_mfma_f32_16x16x32_fp8_fp8 v[80:83], a[54:55], a[38:39], v[80:83]// 0000000064B0: D3F30050 1D424D36
	v_mfma_f32_16x16x32_fp8_fp8 v[92:95], a[56:57], a[32:33], v[92:95]// 0000000064B8: D3F3005C 1D724138
	buffer_load_dwordx4 a[92:95], v49, s[84:87], 0 offen offset:1024// 0000000064C0: E05C1400 80955C31
	v_mfma_f32_16x16x32_fp8_fp8 v[92:95], a[58:59], a[34:35], v[92:95]// 0000000064C8: D3F3005C 1D72453A
	v_mfma_f32_16x16x32_fp8_fp8 v[92:95], a[60:61], a[36:37], v[92:95]// 0000000064D0: D3F3005C 1D72493C
	v_mfma_f32_16x16x32_fp8_fp8 v[92:95], a[62:63], a[38:39], v[92:95]// 0000000064D8: D3F3005C 1D724D3E
	v_mfma_f32_16x16x32_fp8_fp8 v[84:87], a[48:49], a[40:41], v[84:87]// 0000000064E0: D3F30054 1D525130
	s_add_u32 s60, 0x180, s80                                  // 0000000064E8: 803C50FF 00000180
	s_cmp_lt_u32 s60, s81                                      // 0000000064F0: BF0A513C
	s_cselect_b32 s57, s57, 0                                  // 0000000064F4: 85398039
	v_mfma_f32_16x16x32_fp8_fp8 v[84:87], a[50:51], a[42:43], v[84:87]// 0000000064F8: D3F30054 1D525532
	s_add_u32 s60, 0x100, s80                                  // 000000006500: 803C50FF 00000100
	s_cmp_lt_u32 s60, s81                                      // 000000006508: BF0A513C
	s_cselect_b32 s58, s58, 0                                  // 00000000650C: 853A803A
	v_mfma_f32_16x16x32_fp8_fp8 v[84:87], a[52:53], a[44:45], v[84:87]// 000000006510: D3F30054 1D525934
	s_add_u32 s60, 0x100, s80                                  // 000000006518: 803C50FF 00000100
	s_cmp_lt_u32 s60, s81                                      // 000000006520: BF0A513C
	s_cselect_b32 s83, s83, 0                                  // 000000006524: 85538053
	v_mfma_f32_16x16x32_fp8_fp8 v[84:87], a[54:55], a[46:47], v[84:87]// 000000006528: D3F30054 1D525D36
	s_add_u32 s24, s58, s24                                    // 000000006530: 8018183A
	s_addc_u32 s25, 0, s25                                     // 000000006534: 82191980
	v_mfma_f32_16x16x32_fp8_fp8 v[96:99], a[56:57], a[40:41], v[96:99]// 000000006538: D3F30060 1D825138
	s_add_u32 s20, s57, s20                                    // 000000006540: 80141439
	s_addc_u32 s21, 0, s21                                     // 000000006544: 82151580
	v_mfma_f32_16x16x32_fp8_fp8 v[96:99], a[58:59], a[42:43], v[96:99]// 000000006548: D3F30060 1D82553A
	s_add_u32 s84, s83, s84                                    // 000000006550: 80545453
	s_addc_u32 s85, 0, s85                                     // 000000006554: 82555580
	v_mfma_f32_16x16x32_fp8_fp8 v[96:99], a[60:61], a[44:45], v[96:99]// 000000006558: D3F30060 1D82593C
	v_mfma_f32_16x16x32_fp8_fp8 v[96:99], a[62:63], a[46:47], v[96:99]// 000000006560: D3F30060 1D825D3E
	s_addk_i32 s80, 0x80                                       // 000000006568: B7500080
	s_cmp_lt_i32 s80, s81                                      // 00000000656C: BF045150
	s_cbranch_scc0 label_118D                                  // 000000006570: BF8402AD
	s_waitcnt vmcnt(10) lgkmcnt(0)                             // 000000006574: BF8C007A
	v_mfma_f32_16x16x32_fp8_fp8 v[52:55], a[64:65], a[0:1], v[52:55]// 000000006578: D3F30034 1CD20140
	buffer_load_dwordx4 a[48:51], v48, s[24:27], 0 offen       // 000000006580: E05C1000 80863030
	v_mfma_f32_16x16x32_fp8_fp8 v[52:55], a[66:67], a[2:3], v[52:55]// 000000006588: D3F30034 1CD20542
	v_mfma_f32_16x16x32_fp8_fp8 v[52:55], a[68:69], a[4:5], v[52:55]// 000000006590: D3F30034 1CD20944
	v_mfma_f32_16x16x32_fp8_fp8 v[52:55], a[70:71], a[6:7], v[52:55]// 000000006598: D3F30034 1CD20D46
	v_mfma_f32_16x16x32_fp8_fp8 v[64:67], a[72:73], a[0:1], v[64:67]// 0000000065A0: D3F30040 1D020148
	buffer_load_dwordx4 a[52:55], v48, s[24:27], 0 offen offset:1024// 0000000065A8: E05C1400 80863430
	v_mfma_f32_16x16x32_fp8_fp8 v[64:67], a[74:75], a[2:3], v[64:67]// 0000000065B0: D3F30040 1D02054A
	v_mfma_f32_16x16x32_fp8_fp8 v[64:67], a[76:77], a[4:5], v[64:67]// 0000000065B8: D3F30040 1D02094C
	v_mfma_f32_16x16x32_fp8_fp8 v[64:67], a[78:79], a[6:7], v[64:67]// 0000000065C0: D3F30040 1D020D4E
	v_mfma_f32_16x16x32_fp8_fp8 v[56:59], a[64:65], a[8:9], v[56:59]// 0000000065C8: D3F30038 1CE21140
	buffer_load_dwordx4 a[56:59], v49, s[24:27], 0 offen       // 0000000065D0: E05C1000 80863831
	v_mfma_f32_16x16x32_fp8_fp8 v[56:59], a[66:67], a[10:11], v[56:59]// 0000000065D8: D3F30038 1CE21542
	v_mfma_f32_16x16x32_fp8_fp8 v[56:59], a[68:69], a[12:13], v[56:59]// 0000000065E0: D3F30038 1CE21944
	v_mfma_f32_16x16x32_fp8_fp8 v[56:59], a[70:71], a[14:15], v[56:59]// 0000000065E8: D3F30038 1CE21D46
	v_mfma_f32_16x16x32_fp8_fp8 v[68:71], a[72:73], a[8:9], v[68:71]// 0000000065F0: D3F30044 1D121148
	buffer_load_dwordx4 a[60:63], v49, s[24:27], 0 offen offset:1024// 0000000065F8: E05C1400 80863C31
	buffer_load_dword v42, s[20:23], 0 offen lds               // 000000006600: E0511000 8005002A
	s_add_u32 m0, 0x100, s49                                   // 000000006608: 807C31FF 00000100
	v_mfma_f32_16x16x32_fp8_fp8 v[68:71], a[74:75], a[10:11], v[68:71]// 000000006610: D3F30044 1D12154A
	v_mfma_f32_16x16x32_fp8_fp8 v[68:71], a[76:77], a[12:13], v[68:71]// 000000006618: D3F30044 1D12194C
	buffer_load_dword v43, s[20:23], 0 offen lds               // 000000006620: E0511000 8005002B
	s_add_u32 m0, 0x200, s49                                   // 000000006628: 807C31FF 00000200
	v_mfma_f32_16x16x32_fp8_fp8 v[68:71], a[78:79], a[14:15], v[68:71]// 000000006630: D3F30044 1D121D4E
	v_mfma_f32_16x16x32_fp8_fp8 v[60:63], a[64:65], a[16:17], v[60:63]// 000000006638: D3F3003C 1CF22140
	buffer_load_dword v44, s[20:23], 0 offen lds               // 000000006640: E0511000 8005002C
	s_add_u32 m0, 0x300, s49                                   // 000000006648: 807C31FF 00000300
	v_mfma_f32_16x16x32_fp8_fp8 v[60:63], a[66:67], a[18:19], v[60:63]// 000000006650: D3F3003C 1CF22542
	v_mfma_f32_16x16x32_fp8_fp8 v[60:63], a[68:69], a[20:21], v[60:63]// 000000006658: D3F3003C 1CF22944
	buffer_load_dword v45, s[20:23], 0 offen lds               // 000000006660: E0511000 8005002D
	s_add_u32 m0, 0x400, s49                                   // 000000006668: 807C31FF 00000400
	v_mfma_f32_16x16x32_fp8_fp8 v[60:63], a[70:71], a[22:23], v[60:63]// 000000006670: D3F3003C 1CF22D46
	v_mfma_f32_16x16x32_fp8_fp8 v[72:75], a[72:73], a[16:17], v[72:75]// 000000006678: D3F30048 1D222148
	buffer_load_dword v46, s[20:23], 0 offen lds               // 000000006680: E0511000 8005002E
	s_add_u32 m0, 0x500, s49                                   // 000000006688: 807C31FF 00000500
	v_mfma_f32_16x16x32_fp8_fp8 v[72:75], a[74:75], a[18:19], v[72:75]// 000000006690: D3F30048 1D22254A
	v_mfma_f32_16x16x32_fp8_fp8 v[72:75], a[76:77], a[20:21], v[72:75]// 000000006698: D3F30048 1D22294C
	buffer_load_dword v47, s[20:23], 0 offen lds               // 0000000066A0: E0511000 8005002F
	s_add_u32 m0, 0, s50                                       // 0000000066A8: 807C3280
	v_mfma_f32_16x16x32_fp8_fp8 v[72:75], a[78:79], a[22:23], v[72:75]// 0000000066AC: D3F30048 1D222D4E
	s_waitcnt vmcnt(10)                                        // 0000000066B4: BF8C0F7A
	s_barrier                                                  // 0000000066B8: BF8A0000
	v_mfma_f32_16x16x32_fp8_fp8 v[76:79], a[80:81], a[0:1], v[76:79]// 0000000066BC: D3F3004C 1D320150
	buffer_load_dwordx4 a[64:67], v48, s[84:87], 0 offen       // 0000000066C4: E05C1000 80954030
	v_mfma_f32_16x16x32_fp8_fp8 v[76:79], a[82:83], a[2:3], v[76:79]// 0000000066CC: D3F3004C 1D320552
	v_mfma_f32_16x16x32_fp8_fp8 v[76:79], a[84:85], a[4:5], v[76:79]// 0000000066D4: D3F3004C 1D320954
	ds_read_b128 a[24:27], v2                                  // 0000000066DC: DBFE0000 18000002
	ds_read_b128 a[28:31], v2 offset:64                        // 0000000066E4: DBFE0040 1C000002
	v_mfma_f32_16x16x32_fp8_fp8 v[76:79], a[86:87], a[6:7], v[76:79]// 0000000066EC: D3F3004C 1D320D56
	v_mfma_f32_16x16x32_fp8_fp8 v[88:91], a[88:89], a[0:1], v[88:91]// 0000000066F4: D3F30058 1D620158
	buffer_load_dwordx4 a[68:71], v48, s[84:87], 0 offen offset:1024// 0000000066FC: E05C1400 80954430
	v_mfma_f32_16x16x32_fp8_fp8 v[88:91], a[90:91], a[2:3], v[88:91]// 000000006704: D3F30058 1D62055A
	v_mfma_f32_16x16x32_fp8_fp8 v[88:91], a[92:93], a[4:5], v[88:91]// 00000000670C: D3F30058 1D62095C
	ds_read_b128 a[32:35], v2 offset:512                       // 000000006714: DBFE0200 20000002
	ds_read_b128 a[36:39], v2 offset:576                       // 00000000671C: DBFE0240 24000002
	v_mfma_f32_16x16x32_fp8_fp8 v[88:91], a[94:95], a[6:7], v[88:91]// 000000006724: D3F30058 1D620D5E
	v_mfma_f32_16x16x32_fp8_fp8 v[80:83], a[80:81], a[8:9], v[80:83]// 00000000672C: D3F30050 1D421150
	buffer_load_dwordx4 a[72:75], v49, s[84:87], 0 offen       // 000000006734: E05C1000 80954831
	v_mfma_f32_16x16x32_fp8_fp8 v[80:83], a[82:83], a[10:11], v[80:83]// 00000000673C: D3F30050 1D421552
	v_mfma_f32_16x16x32_fp8_fp8 v[80:83], a[84:85], a[12:13], v[80:83]// 000000006744: D3F30050 1D421954
	ds_read_b128 a[40:43], v2 offset:1024                      // 00000000674C: DBFE0400 28000002
	ds_read_b128 a[44:47], v2 offset:1088                      // 000000006754: DBFE0440 2C000002
	v_mfma_f32_16x16x32_fp8_fp8 v[80:83], a[86:87], a[14:15], v[80:83]// 00000000675C: D3F30050 1D421D56
	v_mfma_f32_16x16x32_fp8_fp8 v[92:95], a[88:89], a[8:9], v[92:95]// 000000006764: D3F3005C 1D721158
	buffer_load_dwordx4 a[76:79], v49, s[84:87], 0 offen offset:1024// 00000000676C: E05C1400 80954C31
	v_mfma_f32_16x16x32_fp8_fp8 v[92:95], a[90:91], a[10:11], v[92:95]// 000000006774: D3F3005C 1D72155A
	v_mfma_f32_16x16x32_fp8_fp8 v[92:95], a[92:93], a[12:13], v[92:95]// 00000000677C: D3F3005C 1D72195C
	v_mfma_f32_16x16x32_fp8_fp8 v[92:95], a[94:95], a[14:15], v[92:95]// 000000006784: D3F3005C 1D721D5E
	v_mfma_f32_16x16x32_fp8_fp8 v[84:87], a[80:81], a[16:17], v[84:87]// 00000000678C: D3F30054 1D522150
	s_add_u32 s60, 0x180, s80                                  // 000000006794: 803C50FF 00000180
	s_cmp_lt_u32 s60, s81                                      // 00000000679C: BF0A513C
	s_cselect_b32 s57, s57, 0                                  // 0000000067A0: 85398039
	v_mfma_f32_16x16x32_fp8_fp8 v[84:87], a[82:83], a[18:19], v[84:87]// 0000000067A4: D3F30054 1D522552
	s_add_u32 s60, 0x100, s80                                  // 0000000067AC: 803C50FF 00000100
	s_cmp_lt_u32 s60, s81                                      // 0000000067B4: BF0A513C
	s_cselect_b32 s58, s58, 0                                  // 0000000067B8: 853A803A
	v_mfma_f32_16x16x32_fp8_fp8 v[84:87], a[84:85], a[20:21], v[84:87]// 0000000067BC: D3F30054 1D522954
	s_add_u32 s60, 0x100, s80                                  // 0000000067C4: 803C50FF 00000100
	s_cmp_lt_u32 s60, s81                                      // 0000000067CC: BF0A513C
	s_cselect_b32 s83, s83, 0                                  // 0000000067D0: 85538053
	v_mfma_f32_16x16x32_fp8_fp8 v[84:87], a[86:87], a[22:23], v[84:87]// 0000000067D4: D3F30054 1D522D56
	s_add_u32 s24, s58, s24                                    // 0000000067DC: 8018183A
	s_addc_u32 s25, 0, s25                                     // 0000000067E0: 82191980
	v_mfma_f32_16x16x32_fp8_fp8 v[96:99], a[88:89], a[16:17], v[96:99]// 0000000067E4: D3F30060 1D822158
	s_add_u32 s20, s57, s20                                    // 0000000067EC: 80141439
	s_addc_u32 s21, 0, s21                                     // 0000000067F0: 82151580
	v_mfma_f32_16x16x32_fp8_fp8 v[96:99], a[90:91], a[18:19], v[96:99]// 0000000067F4: D3F30060 1D82255A
	s_add_u32 s84, s83, s84                                    // 0000000067FC: 80545453
	s_addc_u32 s85, 0, s85                                     // 000000006800: 82555580
	v_mfma_f32_16x16x32_fp8_fp8 v[96:99], a[92:93], a[20:21], v[96:99]// 000000006804: D3F30060 1D82295C
	v_mfma_f32_16x16x32_fp8_fp8 v[96:99], a[94:95], a[22:23], v[96:99]// 00000000680C: D3F30060 1D822D5E
	s_addk_i32 s80, 0x80                                       // 000000006814: B7500080
	s_cmp_lt_i32 s80, s81                                      // 000000006818: BF045150
	s_cbranch_scc0 label_118D                                  // 00000000681C: BF840202
	s_waitcnt vmcnt(10) lgkmcnt(0)                             // 000000006820: BF8C007A
	v_mfma_f32_16x16x32_fp8_fp8 v[52:55], a[48:49], a[24:25], v[52:55]// 000000006824: D3F30034 1CD23130
	buffer_load_dwordx4 a[80:83], v48, s[24:27], 0 offen       // 00000000682C: E05C1000 80865030
	v_mfma_f32_16x16x32_fp8_fp8 v[52:55], a[50:51], a[26:27], v[52:55]// 000000006834: D3F30034 1CD23532
	v_mfma_f32_16x16x32_fp8_fp8 v[52:55], a[52:53], a[28:29], v[52:55]// 00000000683C: D3F30034 1CD23934
	v_mfma_f32_16x16x32_fp8_fp8 v[52:55], a[54:55], a[30:31], v[52:55]// 000000006844: D3F30034 1CD23D36
	v_mfma_f32_16x16x32_fp8_fp8 v[64:67], a[56:57], a[24:25], v[64:67]// 00000000684C: D3F30040 1D023138
	buffer_load_dwordx4 a[84:87], v48, s[24:27], 0 offen offset:1024// 000000006854: E05C1400 80865430
	v_mfma_f32_16x16x32_fp8_fp8 v[64:67], a[58:59], a[26:27], v[64:67]// 00000000685C: D3F30040 1D02353A
	v_mfma_f32_16x16x32_fp8_fp8 v[64:67], a[60:61], a[28:29], v[64:67]// 000000006864: D3F30040 1D02393C
	v_mfma_f32_16x16x32_fp8_fp8 v[64:67], a[62:63], a[30:31], v[64:67]// 00000000686C: D3F30040 1D023D3E
	v_mfma_f32_16x16x32_fp8_fp8 v[56:59], a[48:49], a[32:33], v[56:59]// 000000006874: D3F30038 1CE24130
	buffer_load_dwordx4 a[88:91], v49, s[24:27], 0 offen       // 00000000687C: E05C1000 80865831
	v_mfma_f32_16x16x32_fp8_fp8 v[56:59], a[50:51], a[34:35], v[56:59]// 000000006884: D3F30038 1CE24532
	v_mfma_f32_16x16x32_fp8_fp8 v[56:59], a[52:53], a[36:37], v[56:59]// 00000000688C: D3F30038 1CE24934
	v_mfma_f32_16x16x32_fp8_fp8 v[56:59], a[54:55], a[38:39], v[56:59]// 000000006894: D3F30038 1CE24D36
	v_mfma_f32_16x16x32_fp8_fp8 v[68:71], a[56:57], a[32:33], v[68:71]// 00000000689C: D3F30044 1D124138
	buffer_load_dwordx4 a[92:95], v49, s[24:27], 0 offen offset:1024// 0000000068A4: E05C1400 80865C31
	buffer_load_dword v42, s[20:23], 0 offen lds               // 0000000068AC: E0511000 8005002A
	s_add_u32 m0, 0x100, s50                                   // 0000000068B4: 807C32FF 00000100
	v_mfma_f32_16x16x32_fp8_fp8 v[68:71], a[58:59], a[34:35], v[68:71]// 0000000068BC: D3F30044 1D12453A
	v_mfma_f32_16x16x32_fp8_fp8 v[68:71], a[60:61], a[36:37], v[68:71]// 0000000068C4: D3F30044 1D12493C
	buffer_load_dword v43, s[20:23], 0 offen lds               // 0000000068CC: E0511000 8005002B
	s_add_u32 m0, 0x200, s50                                   // 0000000068D4: 807C32FF 00000200
	v_mfma_f32_16x16x32_fp8_fp8 v[68:71], a[62:63], a[38:39], v[68:71]// 0000000068DC: D3F30044 1D124D3E
	v_mfma_f32_16x16x32_fp8_fp8 v[60:63], a[48:49], a[40:41], v[60:63]// 0000000068E4: D3F3003C 1CF25130
	buffer_load_dword v44, s[20:23], 0 offen lds               // 0000000068EC: E0511000 8005002C
	s_add_u32 m0, 0x300, s50                                   // 0000000068F4: 807C32FF 00000300
	v_mfma_f32_16x16x32_fp8_fp8 v[60:63], a[50:51], a[42:43], v[60:63]// 0000000068FC: D3F3003C 1CF25532
	v_mfma_f32_16x16x32_fp8_fp8 v[60:63], a[52:53], a[44:45], v[60:63]// 000000006904: D3F3003C 1CF25934
	buffer_load_dword v45, s[20:23], 0 offen lds               // 00000000690C: E0511000 8005002D
	s_add_u32 m0, 0x400, s50                                   // 000000006914: 807C32FF 00000400
	v_mfma_f32_16x16x32_fp8_fp8 v[60:63], a[54:55], a[46:47], v[60:63]// 00000000691C: D3F3003C 1CF25D36
	v_mfma_f32_16x16x32_fp8_fp8 v[72:75], a[56:57], a[40:41], v[72:75]// 000000006924: D3F30048 1D225138
	buffer_load_dword v46, s[20:23], 0 offen lds               // 00000000692C: E0511000 8005002E
	s_add_u32 m0, 0x500, s50                                   // 000000006934: 807C32FF 00000500
	v_mfma_f32_16x16x32_fp8_fp8 v[72:75], a[58:59], a[42:43], v[72:75]// 00000000693C: D3F30048 1D22553A
	v_mfma_f32_16x16x32_fp8_fp8 v[72:75], a[60:61], a[44:45], v[72:75]// 000000006944: D3F30048 1D22593C
	buffer_load_dword v47, s[20:23], 0 offen lds               // 00000000694C: E0511000 8005002F
	s_add_u32 m0, 0, s48                                       // 000000006954: 807C3080
	v_mfma_f32_16x16x32_fp8_fp8 v[72:75], a[62:63], a[46:47], v[72:75]// 000000006958: D3F30048 1D225D3E
	s_waitcnt vmcnt(10)                                        // 000000006960: BF8C0F7A
	s_barrier                                                  // 000000006964: BF8A0000
	v_mfma_f32_16x16x32_fp8_fp8 v[76:79], a[64:65], a[24:25], v[76:79]// 000000006968: D3F3004C 1D323140
	buffer_load_dwordx4 a[48:51], v48, s[84:87], 0 offen       // 000000006970: E05C1000 80953030
	v_mfma_f32_16x16x32_fp8_fp8 v[76:79], a[66:67], a[26:27], v[76:79]// 000000006978: D3F3004C 1D323542
	v_mfma_f32_16x16x32_fp8_fp8 v[76:79], a[68:69], a[28:29], v[76:79]// 000000006980: D3F3004C 1D323944
	ds_read_b128 a[0:3], v2 offset:6272                        // 000000006988: DBFE1880 00000002
	ds_read_b128 a[4:7], v2 offset:6336                        // 000000006990: DBFE18C0 04000002
	v_mfma_f32_16x16x32_fp8_fp8 v[76:79], a[70:71], a[30:31], v[76:79]// 000000006998: D3F3004C 1D323D46
	v_mfma_f32_16x16x32_fp8_fp8 v[88:91], a[72:73], a[24:25], v[88:91]// 0000000069A0: D3F30058 1D623148
	buffer_load_dwordx4 a[52:55], v48, s[84:87], 0 offen offset:1024// 0000000069A8: E05C1400 80953430
	v_mfma_f32_16x16x32_fp8_fp8 v[88:91], a[74:75], a[26:27], v[88:91]// 0000000069B0: D3F30058 1D62354A
	v_mfma_f32_16x16x32_fp8_fp8 v[88:91], a[76:77], a[28:29], v[88:91]// 0000000069B8: D3F30058 1D62394C
	ds_read_b128 a[8:11], v2 offset:6784                       // 0000000069C0: DBFE1A80 08000002
	ds_read_b128 a[12:15], v2 offset:6848                      // 0000000069C8: DBFE1AC0 0C000002
	v_mfma_f32_16x16x32_fp8_fp8 v[88:91], a[78:79], a[30:31], v[88:91]// 0000000069D0: D3F30058 1D623D4E
	v_mfma_f32_16x16x32_fp8_fp8 v[80:83], a[64:65], a[32:33], v[80:83]// 0000000069D8: D3F30050 1D424140
	buffer_load_dwordx4 a[56:59], v49, s[84:87], 0 offen       // 0000000069E0: E05C1000 80953831
	v_mfma_f32_16x16x32_fp8_fp8 v[80:83], a[66:67], a[34:35], v[80:83]// 0000000069E8: D3F30050 1D424542
	v_mfma_f32_16x16x32_fp8_fp8 v[80:83], a[68:69], a[36:37], v[80:83]// 0000000069F0: D3F30050 1D424944
	ds_read_b128 a[16:19], v2 offset:7296                      // 0000000069F8: DBFE1C80 10000002
	ds_read_b128 a[20:23], v2 offset:7360                      // 000000006A00: DBFE1CC0 14000002
	v_mfma_f32_16x16x32_fp8_fp8 v[80:83], a[70:71], a[38:39], v[80:83]// 000000006A08: D3F30050 1D424D46
	v_mfma_f32_16x16x32_fp8_fp8 v[92:95], a[72:73], a[32:33], v[92:95]// 000000006A10: D3F3005C 1D724148
	buffer_load_dwordx4 a[60:63], v49, s[84:87], 0 offen offset:1024// 000000006A18: E05C1400 80953C31
	v_mfma_f32_16x16x32_fp8_fp8 v[92:95], a[74:75], a[34:35], v[92:95]// 000000006A20: D3F3005C 1D72454A
	v_mfma_f32_16x16x32_fp8_fp8 v[92:95], a[76:77], a[36:37], v[92:95]// 000000006A28: D3F3005C 1D72494C
	v_mfma_f32_16x16x32_fp8_fp8 v[92:95], a[78:79], a[38:39], v[92:95]// 000000006A30: D3F3005C 1D724D4E
	v_mfma_f32_16x16x32_fp8_fp8 v[84:87], a[64:65], a[40:41], v[84:87]// 000000006A38: D3F30054 1D525140
	s_add_u32 s60, 0x180, s80                                  // 000000006A40: 803C50FF 00000180
	s_cmp_lt_u32 s60, s81                                      // 000000006A48: BF0A513C
	s_cselect_b32 s57, s57, 0                                  // 000000006A4C: 85398039
	v_mfma_f32_16x16x32_fp8_fp8 v[84:87], a[66:67], a[42:43], v[84:87]// 000000006A50: D3F30054 1D525542
	s_add_u32 s60, 0x100, s80                                  // 000000006A58: 803C50FF 00000100
	s_cmp_lt_u32 s60, s81                                      // 000000006A60: BF0A513C
	s_cselect_b32 s58, s58, 0                                  // 000000006A64: 853A803A
	v_mfma_f32_16x16x32_fp8_fp8 v[84:87], a[68:69], a[44:45], v[84:87]// 000000006A68: D3F30054 1D525944
	s_add_u32 s60, 0x100, s80                                  // 000000006A70: 803C50FF 00000100
	s_cmp_lt_u32 s60, s81                                      // 000000006A78: BF0A513C
	s_cselect_b32 s83, s83, 0                                  // 000000006A7C: 85538053
	v_mfma_f32_16x16x32_fp8_fp8 v[84:87], a[70:71], a[46:47], v[84:87]// 000000006A80: D3F30054 1D525D46
	s_add_u32 s24, s58, s24                                    // 000000006A88: 8018183A
	s_addc_u32 s25, 0, s25                                     // 000000006A8C: 82191980
	v_mfma_f32_16x16x32_fp8_fp8 v[96:99], a[72:73], a[40:41], v[96:99]// 000000006A90: D3F30060 1D825148
	s_add_u32 s20, s57, s20                                    // 000000006A98: 80141439
	s_addc_u32 s21, 0, s21                                     // 000000006A9C: 82151580
	v_mfma_f32_16x16x32_fp8_fp8 v[96:99], a[74:75], a[42:43], v[96:99]// 000000006AA0: D3F30060 1D82554A
	s_add_u32 s84, s83, s84                                    // 000000006AA8: 80545453
	s_addc_u32 s85, 0, s85                                     // 000000006AAC: 82555580
	v_mfma_f32_16x16x32_fp8_fp8 v[96:99], a[76:77], a[44:45], v[96:99]// 000000006AB0: D3F30060 1D82594C
	v_mfma_f32_16x16x32_fp8_fp8 v[96:99], a[78:79], a[46:47], v[96:99]// 000000006AB8: D3F30060 1D825D4E
	s_addk_i32 s80, 0x80                                       // 000000006AC0: B7500080
	s_cmp_lt_i32 s80, s81                                      // 000000006AC4: BF045150
	s_cbranch_scc0 label_118D                                  // 000000006AC8: BF840157
	s_waitcnt vmcnt(10) lgkmcnt(0)                             // 000000006ACC: BF8C007A
	v_mfma_f32_16x16x32_fp8_fp8 v[52:55], a[80:81], a[0:1], v[52:55]// 000000006AD0: D3F30034 1CD20150
	buffer_load_dwordx4 a[64:67], v48, s[24:27], 0 offen       // 000000006AD8: E05C1000 80864030
	v_mfma_f32_16x16x32_fp8_fp8 v[52:55], a[82:83], a[2:3], v[52:55]// 000000006AE0: D3F30034 1CD20552
	v_mfma_f32_16x16x32_fp8_fp8 v[52:55], a[84:85], a[4:5], v[52:55]// 000000006AE8: D3F30034 1CD20954
	v_mfma_f32_16x16x32_fp8_fp8 v[52:55], a[86:87], a[6:7], v[52:55]// 000000006AF0: D3F30034 1CD20D56
	v_mfma_f32_16x16x32_fp8_fp8 v[64:67], a[88:89], a[0:1], v[64:67]// 000000006AF8: D3F30040 1D020158
	buffer_load_dwordx4 a[68:71], v48, s[24:27], 0 offen offset:1024// 000000006B00: E05C1400 80864430
	v_mfma_f32_16x16x32_fp8_fp8 v[64:67], a[90:91], a[2:3], v[64:67]// 000000006B08: D3F30040 1D02055A
	v_mfma_f32_16x16x32_fp8_fp8 v[64:67], a[92:93], a[4:5], v[64:67]// 000000006B10: D3F30040 1D02095C
	v_mfma_f32_16x16x32_fp8_fp8 v[64:67], a[94:95], a[6:7], v[64:67]// 000000006B18: D3F30040 1D020D5E
	v_mfma_f32_16x16x32_fp8_fp8 v[56:59], a[80:81], a[8:9], v[56:59]// 000000006B20: D3F30038 1CE21150
	buffer_load_dwordx4 a[72:75], v49, s[24:27], 0 offen       // 000000006B28: E05C1000 80864831
	v_mfma_f32_16x16x32_fp8_fp8 v[56:59], a[82:83], a[10:11], v[56:59]// 000000006B30: D3F30038 1CE21552
	v_mfma_f32_16x16x32_fp8_fp8 v[56:59], a[84:85], a[12:13], v[56:59]// 000000006B38: D3F30038 1CE21954
	v_mfma_f32_16x16x32_fp8_fp8 v[56:59], a[86:87], a[14:15], v[56:59]// 000000006B40: D3F30038 1CE21D56
	v_mfma_f32_16x16x32_fp8_fp8 v[68:71], a[88:89], a[8:9], v[68:71]// 000000006B48: D3F30044 1D121158
	buffer_load_dwordx4 a[76:79], v49, s[24:27], 0 offen offset:1024// 000000006B50: E05C1400 80864C31
	buffer_load_dword v42, s[20:23], 0 offen lds               // 000000006B58: E0511000 8005002A
	s_add_u32 m0, 0x100, s48                                   // 000000006B60: 807C30FF 00000100
	v_mfma_f32_16x16x32_fp8_fp8 v[68:71], a[90:91], a[10:11], v[68:71]// 000000006B68: D3F30044 1D12155A
	v_mfma_f32_16x16x32_fp8_fp8 v[68:71], a[92:93], a[12:13], v[68:71]// 000000006B70: D3F30044 1D12195C
	buffer_load_dword v43, s[20:23], 0 offen lds               // 000000006B78: E0511000 8005002B
	s_add_u32 m0, 0x200, s48                                   // 000000006B80: 807C30FF 00000200
	v_mfma_f32_16x16x32_fp8_fp8 v[68:71], a[94:95], a[14:15], v[68:71]// 000000006B88: D3F30044 1D121D5E
	v_mfma_f32_16x16x32_fp8_fp8 v[60:63], a[80:81], a[16:17], v[60:63]// 000000006B90: D3F3003C 1CF22150
	buffer_load_dword v44, s[20:23], 0 offen lds               // 000000006B98: E0511000 8005002C
	s_add_u32 m0, 0x300, s48                                   // 000000006BA0: 807C30FF 00000300
	v_mfma_f32_16x16x32_fp8_fp8 v[60:63], a[82:83], a[18:19], v[60:63]// 000000006BA8: D3F3003C 1CF22552
	v_mfma_f32_16x16x32_fp8_fp8 v[60:63], a[84:85], a[20:21], v[60:63]// 000000006BB0: D3F3003C 1CF22954
	buffer_load_dword v45, s[20:23], 0 offen lds               // 000000006BB8: E0511000 8005002D
	s_add_u32 m0, 0x400, s48                                   // 000000006BC0: 807C30FF 00000400
	v_mfma_f32_16x16x32_fp8_fp8 v[60:63], a[86:87], a[22:23], v[60:63]// 000000006BC8: D3F3003C 1CF22D56
	v_mfma_f32_16x16x32_fp8_fp8 v[72:75], a[88:89], a[16:17], v[72:75]// 000000006BD0: D3F30048 1D222158
	buffer_load_dword v46, s[20:23], 0 offen lds               // 000000006BD8: E0511000 8005002E
	s_add_u32 m0, 0x500, s48                                   // 000000006BE0: 807C30FF 00000500
	v_mfma_f32_16x16x32_fp8_fp8 v[72:75], a[90:91], a[18:19], v[72:75]// 000000006BE8: D3F30048 1D22255A
	v_mfma_f32_16x16x32_fp8_fp8 v[72:75], a[92:93], a[20:21], v[72:75]// 000000006BF0: D3F30048 1D22295C
	buffer_load_dword v47, s[20:23], 0 offen lds               // 000000006BF8: E0511000 8005002F
	s_add_u32 m0, 0, s49                                       // 000000006C00: 807C3180
	v_mfma_f32_16x16x32_fp8_fp8 v[72:75], a[94:95], a[22:23], v[72:75]// 000000006C04: D3F30048 1D222D5E
	s_waitcnt vmcnt(10)                                        // 000000006C0C: BF8C0F7A
	s_barrier                                                  // 000000006C10: BF8A0000
	v_mfma_f32_16x16x32_fp8_fp8 v[76:79], a[48:49], a[0:1], v[76:79]// 000000006C14: D3F3004C 1D320130
	buffer_load_dwordx4 a[80:83], v48, s[84:87], 0 offen       // 000000006C1C: E05C1000 80955030
	v_mfma_f32_16x16x32_fp8_fp8 v[76:79], a[50:51], a[2:3], v[76:79]// 000000006C24: D3F3004C 1D320532
	v_mfma_f32_16x16x32_fp8_fp8 v[76:79], a[52:53], a[4:5], v[76:79]// 000000006C2C: D3F3004C 1D320934
	ds_read_b128 a[24:27], v2 offset:12544                     // 000000006C34: DBFE3100 18000002
	ds_read_b128 a[28:31], v2 offset:12608                     // 000000006C3C: DBFE3140 1C000002
	v_mfma_f32_16x16x32_fp8_fp8 v[76:79], a[54:55], a[6:7], v[76:79]// 000000006C44: D3F3004C 1D320D36
	v_mfma_f32_16x16x32_fp8_fp8 v[88:91], a[56:57], a[0:1], v[88:91]// 000000006C4C: D3F30058 1D620138
	buffer_load_dwordx4 a[84:87], v48, s[84:87], 0 offen offset:1024// 000000006C54: E05C1400 80955430
	v_mfma_f32_16x16x32_fp8_fp8 v[88:91], a[58:59], a[2:3], v[88:91]// 000000006C5C: D3F30058 1D62053A
	v_mfma_f32_16x16x32_fp8_fp8 v[88:91], a[60:61], a[4:5], v[88:91]// 000000006C64: D3F30058 1D62093C
	ds_read_b128 a[32:35], v2 offset:13056                     // 000000006C6C: DBFE3300 20000002
	ds_read_b128 a[36:39], v2 offset:13120                     // 000000006C74: DBFE3340 24000002
	v_mfma_f32_16x16x32_fp8_fp8 v[88:91], a[62:63], a[6:7], v[88:91]// 000000006C7C: D3F30058 1D620D3E
	v_mfma_f32_16x16x32_fp8_fp8 v[80:83], a[48:49], a[8:9], v[80:83]// 000000006C84: D3F30050 1D421130
	buffer_load_dwordx4 a[88:91], v49, s[84:87], 0 offen       // 000000006C8C: E05C1000 80955831
	v_mfma_f32_16x16x32_fp8_fp8 v[80:83], a[50:51], a[10:11], v[80:83]// 000000006C94: D3F30050 1D421532
	v_mfma_f32_16x16x32_fp8_fp8 v[80:83], a[52:53], a[12:13], v[80:83]// 000000006C9C: D3F30050 1D421934
	ds_read_b128 a[40:43], v2 offset:13568                     // 000000006CA4: DBFE3500 28000002
	ds_read_b128 a[44:47], v2 offset:13632                     // 000000006CAC: DBFE3540 2C000002
	v_mfma_f32_16x16x32_fp8_fp8 v[80:83], a[54:55], a[14:15], v[80:83]// 000000006CB4: D3F30050 1D421D36
	v_mfma_f32_16x16x32_fp8_fp8 v[92:95], a[56:57], a[8:9], v[92:95]// 000000006CBC: D3F3005C 1D721138
	buffer_load_dwordx4 a[92:95], v49, s[84:87], 0 offen offset:1024// 000000006CC4: E05C1400 80955C31
	v_mfma_f32_16x16x32_fp8_fp8 v[92:95], a[58:59], a[10:11], v[92:95]// 000000006CCC: D3F3005C 1D72153A
	v_mfma_f32_16x16x32_fp8_fp8 v[92:95], a[60:61], a[12:13], v[92:95]// 000000006CD4: D3F3005C 1D72193C
	v_mfma_f32_16x16x32_fp8_fp8 v[92:95], a[62:63], a[14:15], v[92:95]// 000000006CDC: D3F3005C 1D721D3E
	v_mfma_f32_16x16x32_fp8_fp8 v[84:87], a[48:49], a[16:17], v[84:87]// 000000006CE4: D3F30054 1D522130
	s_add_u32 s60, 0x180, s80                                  // 000000006CEC: 803C50FF 00000180
	s_cmp_lt_u32 s60, s81                                      // 000000006CF4: BF0A513C
	s_cselect_b32 s57, s57, 0                                  // 000000006CF8: 85398039
	v_mfma_f32_16x16x32_fp8_fp8 v[84:87], a[50:51], a[18:19], v[84:87]// 000000006CFC: D3F30054 1D522532
	s_add_u32 s60, 0x100, s80                                  // 000000006D04: 803C50FF 00000100
	s_cmp_lt_u32 s60, s81                                      // 000000006D0C: BF0A513C
	s_cselect_b32 s58, s58, 0                                  // 000000006D10: 853A803A
	v_mfma_f32_16x16x32_fp8_fp8 v[84:87], a[52:53], a[20:21], v[84:87]// 000000006D14: D3F30054 1D522934
	s_add_u32 s60, 0x100, s80                                  // 000000006D1C: 803C50FF 00000100
	s_cmp_lt_u32 s60, s81                                      // 000000006D24: BF0A513C
	s_cselect_b32 s83, s83, 0                                  // 000000006D28: 85538053
	v_mfma_f32_16x16x32_fp8_fp8 v[84:87], a[54:55], a[22:23], v[84:87]// 000000006D2C: D3F30054 1D522D36
	s_add_u32 s24, s58, s24                                    // 000000006D34: 8018183A
	s_addc_u32 s25, 0, s25                                     // 000000006D38: 82191980
	v_mfma_f32_16x16x32_fp8_fp8 v[96:99], a[56:57], a[16:17], v[96:99]// 000000006D3C: D3F30060 1D822138
	s_add_u32 s20, s57, s20                                    // 000000006D44: 80141439
	s_addc_u32 s21, 0, s21                                     // 000000006D48: 82151580
	v_mfma_f32_16x16x32_fp8_fp8 v[96:99], a[58:59], a[18:19], v[96:99]// 000000006D4C: D3F30060 1D82253A
	s_add_u32 s84, s83, s84                                    // 000000006D54: 80545453
	s_addc_u32 s85, 0, s85                                     // 000000006D58: 82555580
	v_mfma_f32_16x16x32_fp8_fp8 v[96:99], a[60:61], a[20:21], v[96:99]// 000000006D5C: D3F30060 1D82293C
	v_mfma_f32_16x16x32_fp8_fp8 v[96:99], a[62:63], a[22:23], v[96:99]// 000000006D64: D3F30060 1D822D3E
	s_addk_i32 s80, 0x80                                       // 000000006D6C: B7500080
	s_cmp_lt_i32 s80, s81                                      // 000000006D70: BF045150
	s_cbranch_scc0 label_118D                                  // 000000006D74: BF8400AC
	s_waitcnt vmcnt(10) lgkmcnt(0)                             // 000000006D78: BF8C007A
	v_mfma_f32_16x16x32_fp8_fp8 v[52:55], a[64:65], a[24:25], v[52:55]// 000000006D7C: D3F30034 1CD23140
	buffer_load_dwordx4 a[48:51], v48, s[24:27], 0 offen       // 000000006D84: E05C1000 80863030
	v_mfma_f32_16x16x32_fp8_fp8 v[52:55], a[66:67], a[26:27], v[52:55]// 000000006D8C: D3F30034 1CD23542
	v_mfma_f32_16x16x32_fp8_fp8 v[52:55], a[68:69], a[28:29], v[52:55]// 000000006D94: D3F30034 1CD23944
	v_mfma_f32_16x16x32_fp8_fp8 v[52:55], a[70:71], a[30:31], v[52:55]// 000000006D9C: D3F30034 1CD23D46
	v_mfma_f32_16x16x32_fp8_fp8 v[64:67], a[72:73], a[24:25], v[64:67]// 000000006DA4: D3F30040 1D023148
	buffer_load_dwordx4 a[52:55], v48, s[24:27], 0 offen offset:1024// 000000006DAC: E05C1400 80863430
	v_mfma_f32_16x16x32_fp8_fp8 v[64:67], a[74:75], a[26:27], v[64:67]// 000000006DB4: D3F30040 1D02354A
	v_mfma_f32_16x16x32_fp8_fp8 v[64:67], a[76:77], a[28:29], v[64:67]// 000000006DBC: D3F30040 1D02394C
	v_mfma_f32_16x16x32_fp8_fp8 v[64:67], a[78:79], a[30:31], v[64:67]// 000000006DC4: D3F30040 1D023D4E
	v_mfma_f32_16x16x32_fp8_fp8 v[56:59], a[64:65], a[32:33], v[56:59]// 000000006DCC: D3F30038 1CE24140
	buffer_load_dwordx4 a[56:59], v49, s[24:27], 0 offen       // 000000006DD4: E05C1000 80863831
	v_mfma_f32_16x16x32_fp8_fp8 v[56:59], a[66:67], a[34:35], v[56:59]// 000000006DDC: D3F30038 1CE24542
	v_mfma_f32_16x16x32_fp8_fp8 v[56:59], a[68:69], a[36:37], v[56:59]// 000000006DE4: D3F30038 1CE24944
	v_mfma_f32_16x16x32_fp8_fp8 v[56:59], a[70:71], a[38:39], v[56:59]// 000000006DEC: D3F30038 1CE24D46
	v_mfma_f32_16x16x32_fp8_fp8 v[68:71], a[72:73], a[32:33], v[68:71]// 000000006DF4: D3F30044 1D124148
	buffer_load_dwordx4 a[60:63], v49, s[24:27], 0 offen offset:1024// 000000006DFC: E05C1400 80863C31
	buffer_load_dword v42, s[20:23], 0 offen lds               // 000000006E04: E0511000 8005002A
	s_add_u32 m0, 0x100, s49                                   // 000000006E0C: 807C31FF 00000100
	v_mfma_f32_16x16x32_fp8_fp8 v[68:71], a[74:75], a[34:35], v[68:71]// 000000006E14: D3F30044 1D12454A
	v_mfma_f32_16x16x32_fp8_fp8 v[68:71], a[76:77], a[36:37], v[68:71]// 000000006E1C: D3F30044 1D12494C
	buffer_load_dword v43, s[20:23], 0 offen lds               // 000000006E24: E0511000 8005002B
	s_add_u32 m0, 0x200, s49                                   // 000000006E2C: 807C31FF 00000200
	v_mfma_f32_16x16x32_fp8_fp8 v[68:71], a[78:79], a[38:39], v[68:71]// 000000006E34: D3F30044 1D124D4E
	v_mfma_f32_16x16x32_fp8_fp8 v[60:63], a[64:65], a[40:41], v[60:63]// 000000006E3C: D3F3003C 1CF25140
	buffer_load_dword v44, s[20:23], 0 offen lds               // 000000006E44: E0511000 8005002C
	s_add_u32 m0, 0x300, s49                                   // 000000006E4C: 807C31FF 00000300
	v_mfma_f32_16x16x32_fp8_fp8 v[60:63], a[66:67], a[42:43], v[60:63]// 000000006E54: D3F3003C 1CF25542
	v_mfma_f32_16x16x32_fp8_fp8 v[60:63], a[68:69], a[44:45], v[60:63]// 000000006E5C: D3F3003C 1CF25944
	buffer_load_dword v45, s[20:23], 0 offen lds               // 000000006E64: E0511000 8005002D
	s_add_u32 m0, 0x400, s49                                   // 000000006E6C: 807C31FF 00000400
	v_mfma_f32_16x16x32_fp8_fp8 v[60:63], a[70:71], a[46:47], v[60:63]// 000000006E74: D3F3003C 1CF25D46
	v_mfma_f32_16x16x32_fp8_fp8 v[72:75], a[72:73], a[40:41], v[72:75]// 000000006E7C: D3F30048 1D225148
	buffer_load_dword v46, s[20:23], 0 offen lds               // 000000006E84: E0511000 8005002E
	s_add_u32 m0, 0x500, s49                                   // 000000006E8C: 807C31FF 00000500
	v_mfma_f32_16x16x32_fp8_fp8 v[72:75], a[74:75], a[42:43], v[72:75]// 000000006E94: D3F30048 1D22554A
	v_mfma_f32_16x16x32_fp8_fp8 v[72:75], a[76:77], a[44:45], v[72:75]// 000000006E9C: D3F30048 1D22594C
	buffer_load_dword v47, s[20:23], 0 offen lds               // 000000006EA4: E0511000 8005002F
	s_add_u32 m0, 0, s50                                       // 000000006EAC: 807C3280
	v_mfma_f32_16x16x32_fp8_fp8 v[72:75], a[78:79], a[46:47], v[72:75]// 000000006EB0: D3F30048 1D225D4E
	s_waitcnt vmcnt(10)                                        // 000000006EB8: BF8C0F7A
	s_barrier                                                  // 000000006EBC: BF8A0000
	v_mfma_f32_16x16x32_fp8_fp8 v[76:79], a[80:81], a[24:25], v[76:79]// 000000006EC0: D3F3004C 1D323150
	buffer_load_dwordx4 a[64:67], v48, s[84:87], 0 offen       // 000000006EC8: E05C1000 80954030
	v_mfma_f32_16x16x32_fp8_fp8 v[76:79], a[82:83], a[26:27], v[76:79]// 000000006ED0: D3F3004C 1D323552
	v_mfma_f32_16x16x32_fp8_fp8 v[76:79], a[84:85], a[28:29], v[76:79]// 000000006ED8: D3F3004C 1D323954
	ds_read_b128 a[0:3], v2                                    // 000000006EE0: DBFE0000 00000002
	ds_read_b128 a[4:7], v2 offset:64                          // 000000006EE8: DBFE0040 04000002
	v_mfma_f32_16x16x32_fp8_fp8 v[76:79], a[86:87], a[30:31], v[76:79]// 000000006EF0: D3F3004C 1D323D56
	v_mfma_f32_16x16x32_fp8_fp8 v[88:91], a[88:89], a[24:25], v[88:91]// 000000006EF8: D3F30058 1D623158
	buffer_load_dwordx4 a[68:71], v48, s[84:87], 0 offen offset:1024// 000000006F00: E05C1400 80954430
	v_mfma_f32_16x16x32_fp8_fp8 v[88:91], a[90:91], a[26:27], v[88:91]// 000000006F08: D3F30058 1D62355A
	v_mfma_f32_16x16x32_fp8_fp8 v[88:91], a[92:93], a[28:29], v[88:91]// 000000006F10: D3F30058 1D62395C
	ds_read_b128 a[8:11], v2 offset:512                        // 000000006F18: DBFE0200 08000002
	ds_read_b128 a[12:15], v2 offset:576                       // 000000006F20: DBFE0240 0C000002
	v_mfma_f32_16x16x32_fp8_fp8 v[88:91], a[94:95], a[30:31], v[88:91]// 000000006F28: D3F30058 1D623D5E
	v_mfma_f32_16x16x32_fp8_fp8 v[80:83], a[80:81], a[32:33], v[80:83]// 000000006F30: D3F30050 1D424150
	buffer_load_dwordx4 a[72:75], v49, s[84:87], 0 offen       // 000000006F38: E05C1000 80954831
	v_mfma_f32_16x16x32_fp8_fp8 v[80:83], a[82:83], a[34:35], v[80:83]// 000000006F40: D3F30050 1D424552
	v_mfma_f32_16x16x32_fp8_fp8 v[80:83], a[84:85], a[36:37], v[80:83]// 000000006F48: D3F30050 1D424954
	ds_read_b128 a[16:19], v2 offset:1024                      // 000000006F50: DBFE0400 10000002
	ds_read_b128 a[20:23], v2 offset:1088                      // 000000006F58: DBFE0440 14000002
	v_mfma_f32_16x16x32_fp8_fp8 v[80:83], a[86:87], a[38:39], v[80:83]// 000000006F60: D3F30050 1D424D56
	v_mfma_f32_16x16x32_fp8_fp8 v[92:95], a[88:89], a[32:33], v[92:95]// 000000006F68: D3F3005C 1D724158
	buffer_load_dwordx4 a[76:79], v49, s[84:87], 0 offen offset:1024// 000000006F70: E05C1400 80954C31
	v_mfma_f32_16x16x32_fp8_fp8 v[92:95], a[90:91], a[34:35], v[92:95]// 000000006F78: D3F3005C 1D72455A
	v_mfma_f32_16x16x32_fp8_fp8 v[92:95], a[92:93], a[36:37], v[92:95]// 000000006F80: D3F3005C 1D72495C
	v_mfma_f32_16x16x32_fp8_fp8 v[92:95], a[94:95], a[38:39], v[92:95]// 000000006F88: D3F3005C 1D724D5E
	v_mfma_f32_16x16x32_fp8_fp8 v[84:87], a[80:81], a[40:41], v[84:87]// 000000006F90: D3F30054 1D525150
	s_add_u32 s60, 0x180, s80                                  // 000000006F98: 803C50FF 00000180
	s_cmp_lt_u32 s60, s81                                      // 000000006FA0: BF0A513C
	s_cselect_b32 s57, s57, 0                                  // 000000006FA4: 85398039
	v_mfma_f32_16x16x32_fp8_fp8 v[84:87], a[82:83], a[42:43], v[84:87]// 000000006FA8: D3F30054 1D525552
	s_add_u32 s60, 0x100, s80                                  // 000000006FB0: 803C50FF 00000100
	s_cmp_lt_u32 s60, s81                                      // 000000006FB8: BF0A513C
	s_cselect_b32 s58, s58, 0                                  // 000000006FBC: 853A803A
	v_mfma_f32_16x16x32_fp8_fp8 v[84:87], a[84:85], a[44:45], v[84:87]// 000000006FC0: D3F30054 1D525954
	s_add_u32 s60, 0x100, s80                                  // 000000006FC8: 803C50FF 00000100
	s_cmp_lt_u32 s60, s81                                      // 000000006FD0: BF0A513C
	s_cselect_b32 s83, s83, 0                                  // 000000006FD4: 85538053
	v_mfma_f32_16x16x32_fp8_fp8 v[84:87], a[86:87], a[46:47], v[84:87]// 000000006FD8: D3F30054 1D525D56
	s_add_u32 s24, s58, s24                                    // 000000006FE0: 8018183A
	s_addc_u32 s25, 0, s25                                     // 000000006FE4: 82191980
	v_mfma_f32_16x16x32_fp8_fp8 v[96:99], a[88:89], a[40:41], v[96:99]// 000000006FE8: D3F30060 1D825158
	s_add_u32 s20, s57, s20                                    // 000000006FF0: 80141439
	s_addc_u32 s21, 0, s21                                     // 000000006FF4: 82151580
	v_mfma_f32_16x16x32_fp8_fp8 v[96:99], a[90:91], a[42:43], v[96:99]// 000000006FF8: D3F30060 1D82555A
	s_add_u32 s84, s83, s84                                    // 000000007000: 80545453
	s_addc_u32 s85, 0, s85                                     // 000000007004: 82555580
	v_mfma_f32_16x16x32_fp8_fp8 v[96:99], a[92:93], a[44:45], v[96:99]// 000000007008: D3F30060 1D82595C
	v_mfma_f32_16x16x32_fp8_fp8 v[96:99], a[94:95], a[46:47], v[96:99]// 000000007010: D3F30060 1D825D5E
	s_addk_i32 s80, 0x80                                       // 000000007018: B7500080
	s_cmp_lt_i32 s80, s81                                      // 00000000701C: BF045150
	s_cbranch_scc0 label_118D                                  // 000000007020: BF840001
	s_branch label_0D8A                                        // 000000007024: BF82FBFD

0000000000007028 <label_118D>:
	v_mul_f32_dpp v52, v24, v52 row_newbcast:0 row_mask:0xf bank_mask:0xf// 000000007028: 0A6868FA FF015018
	v_mul_f32_dpp v53, v24, v53 row_newbcast:1 row_mask:0xf bank_mask:0xf// 000000007030: 0A6A6AFA FF015118
	v_mul_f32_dpp v54, v24, v54 row_newbcast:2 row_mask:0xf bank_mask:0xf// 000000007038: 0A6C6CFA FF015218
	v_mul_f32_dpp v55, v24, v55 row_newbcast:3 row_mask:0xf bank_mask:0xf// 000000007040: 0A6E6EFA FF015318
	v_mul_f32_dpp v56, v24, v56 row_newbcast:0 row_mask:0xf bank_mask:0xf// 000000007048: 0A7070FA FF015018
	v_mul_f32_dpp v57, v24, v57 row_newbcast:1 row_mask:0xf bank_mask:0xf// 000000007050: 0A7272FA FF015118
	v_mul_f32_dpp v58, v24, v58 row_newbcast:2 row_mask:0xf bank_mask:0xf// 000000007058: 0A7474FA FF015218
	v_mul_f32_dpp v59, v24, v59 row_newbcast:3 row_mask:0xf bank_mask:0xf// 000000007060: 0A7676FA FF015318
	v_mul_f32_dpp v60, v24, v60 row_newbcast:0 row_mask:0xf bank_mask:0xf// 000000007068: 0A7878FA FF015018
	v_mul_f32_dpp v61, v24, v61 row_newbcast:1 row_mask:0xf bank_mask:0xf// 000000007070: 0A7A7AFA FF015118
	v_mul_f32_dpp v62, v24, v62 row_newbcast:2 row_mask:0xf bank_mask:0xf// 000000007078: 0A7C7CFA FF015218
	v_mul_f32_dpp v63, v24, v63 row_newbcast:3 row_mask:0xf bank_mask:0xf// 000000007080: 0A7E7EFA FF015318
	v_mul_f32_dpp v64, v24, v64 row_newbcast:4 row_mask:0xf bank_mask:0xf// 000000007088: 0A8080FA FF015418
	v_mul_f32_dpp v65, v24, v65 row_newbcast:5 row_mask:0xf bank_mask:0xf// 000000007090: 0A8282FA FF015518
	v_mul_f32_dpp v66, v24, v66 row_newbcast:6 row_mask:0xf bank_mask:0xf// 000000007098: 0A8484FA FF015618
	v_mul_f32_dpp v67, v24, v67 row_newbcast:7 row_mask:0xf bank_mask:0xf// 0000000070A0: 0A8686FA FF015718
	v_mul_f32_dpp v68, v24, v68 row_newbcast:4 row_mask:0xf bank_mask:0xf// 0000000070A8: 0A8888FA FF015418
	v_mul_f32_dpp v69, v24, v69 row_newbcast:5 row_mask:0xf bank_mask:0xf// 0000000070B0: 0A8A8AFA FF015518
	v_mul_f32_dpp v70, v24, v70 row_newbcast:6 row_mask:0xf bank_mask:0xf// 0000000070B8: 0A8C8CFA FF015618
	v_mul_f32_dpp v71, v24, v71 row_newbcast:7 row_mask:0xf bank_mask:0xf// 0000000070C0: 0A8E8EFA FF015718
	v_mul_f32_dpp v72, v24, v72 row_newbcast:4 row_mask:0xf bank_mask:0xf// 0000000070C8: 0A9090FA FF015418
	v_mul_f32_dpp v73, v24, v73 row_newbcast:5 row_mask:0xf bank_mask:0xf// 0000000070D0: 0A9292FA FF015518
	v_mul_f32_dpp v74, v24, v74 row_newbcast:6 row_mask:0xf bank_mask:0xf// 0000000070D8: 0A9494FA FF015618
	v_mul_f32_dpp v75, v24, v75 row_newbcast:7 row_mask:0xf bank_mask:0xf// 0000000070E0: 0A9696FA FF015718
	v_mul_f32_dpp v76, v27, v76 row_newbcast:0 row_mask:0xf bank_mask:0xf// 0000000070E8: 0A9898FA FF01501B
	v_mul_f32_dpp v77, v27, v77 row_newbcast:1 row_mask:0xf bank_mask:0xf// 0000000070F0: 0A9A9AFA FF01511B
	v_mul_f32_dpp v78, v27, v78 row_newbcast:2 row_mask:0xf bank_mask:0xf// 0000000070F8: 0A9C9CFA FF01521B
	v_mul_f32_dpp v79, v27, v79 row_newbcast:3 row_mask:0xf bank_mask:0xf// 000000007100: 0A9E9EFA FF01531B
	v_mul_f32_dpp v80, v27, v80 row_newbcast:0 row_mask:0xf bank_mask:0xf// 000000007108: 0AA0A0FA FF01501B
	v_mul_f32_dpp v81, v27, v81 row_newbcast:1 row_mask:0xf bank_mask:0xf// 000000007110: 0AA2A2FA FF01511B
	v_mul_f32_dpp v82, v27, v82 row_newbcast:2 row_mask:0xf bank_mask:0xf// 000000007118: 0AA4A4FA FF01521B
	v_mul_f32_dpp v83, v27, v83 row_newbcast:3 row_mask:0xf bank_mask:0xf// 000000007120: 0AA6A6FA FF01531B
	v_mul_f32_dpp v84, v27, v84 row_newbcast:0 row_mask:0xf bank_mask:0xf// 000000007128: 0AA8A8FA FF01501B
	v_mul_f32_dpp v85, v27, v85 row_newbcast:1 row_mask:0xf bank_mask:0xf// 000000007130: 0AAAAAFA FF01511B
	v_mul_f32_dpp v86, v27, v86 row_newbcast:2 row_mask:0xf bank_mask:0xf// 000000007138: 0AACACFA FF01521B
	v_mul_f32_dpp v87, v27, v87 row_newbcast:3 row_mask:0xf bank_mask:0xf// 000000007140: 0AAEAEFA FF01531B
	v_mul_f32_dpp v88, v27, v88 row_newbcast:4 row_mask:0xf bank_mask:0xf// 000000007148: 0AB0B0FA FF01541B
	v_mul_f32_dpp v89, v27, v89 row_newbcast:5 row_mask:0xf bank_mask:0xf// 000000007150: 0AB2B2FA FF01551B
	v_mul_f32_dpp v90, v27, v90 row_newbcast:6 row_mask:0xf bank_mask:0xf// 000000007158: 0AB4B4FA FF01561B
	v_mul_f32_dpp v91, v27, v91 row_newbcast:7 row_mask:0xf bank_mask:0xf// 000000007160: 0AB6B6FA FF01571B
	v_mul_f32_dpp v92, v27, v92 row_newbcast:4 row_mask:0xf bank_mask:0xf// 000000007168: 0AB8B8FA FF01541B
	v_mul_f32_dpp v93, v27, v93 row_newbcast:5 row_mask:0xf bank_mask:0xf// 000000007170: 0ABABAFA FF01551B
	v_mul_f32_dpp v94, v27, v94 row_newbcast:6 row_mask:0xf bank_mask:0xf// 000000007178: 0ABCBCFA FF01561B
	v_mul_f32_dpp v95, v27, v95 row_newbcast:7 row_mask:0xf bank_mask:0xf// 000000007180: 0ABEBEFA FF01571B
	v_mul_f32_dpp v96, v27, v96 row_newbcast:4 row_mask:0xf bank_mask:0xf// 000000007188: 0AC0C0FA FF01541B
	v_mul_f32_dpp v97, v27, v97 row_newbcast:5 row_mask:0xf bank_mask:0xf// 000000007190: 0AC2C2FA FF01551B
	v_mul_f32_dpp v98, v27, v98 row_newbcast:6 row_mask:0xf bank_mask:0xf// 000000007198: 0AC4C4FA FF01561B
	v_mul_f32_dpp v99, v27, v99 row_newbcast:7 row_mask:0xf bank_mask:0xf// 0000000071A0: 0AC6C6FA FF01571B
	v_mul_f32_e32 v33, v33, v100                               // 0000000071A8: 0A42C921
	v_mov_b32_e32 v4, v33                                      // 0000000071AC: 7E080321
	v_mov_b32_e32 v5, v4                                       // 0000000071B0: 7E0A0304
	v_pk_mul_f32 v[52:53], v[4:5], v[52:53]                    // 0000000071B4: D3B14034 18026904
	v_pk_mul_f32 v[76:77], v[4:5], v[76:77]                    // 0000000071BC: D3B1404C 18029904
	v_pk_mul_f32 v[54:55], v[4:5], v[54:55]                    // 0000000071C4: D3B14036 18026D04
	v_pk_mul_f32 v[78:79], v[4:5], v[78:79]                    // 0000000071CC: D3B1404E 18029D04
	v_pk_mul_f32 v[64:65], v[4:5], v[64:65]                    // 0000000071D4: D3B14040 18028104
	v_pk_mul_f32 v[88:89], v[4:5], v[88:89]                    // 0000000071DC: D3B14058 1802B104
	v_pk_mul_f32 v[66:67], v[4:5], v[66:67]                    // 0000000071E4: D3B14042 18028504
	v_pk_mul_f32 v[90:91], v[4:5], v[90:91]                    // 0000000071EC: D3B1405A 1802B504
	v_mul_f32_e32 v34, v34, v101                               // 0000000071F4: 0A44CB22
	v_mov_b32_e32 v4, v34                                      // 0000000071F8: 7E080322
	v_mov_b32_e32 v5, v4                                       // 0000000071FC: 7E0A0304
	v_pk_mul_f32 v[56:57], v[4:5], v[56:57]                    // 000000007200: D3B14038 18027104
	v_pk_mul_f32 v[80:81], v[4:5], v[80:81]                    // 000000007208: D3B14050 1802A104
	v_pk_mul_f32 v[58:59], v[4:5], v[58:59]                    // 000000007210: D3B1403A 18027504
	v_pk_mul_f32 v[82:83], v[4:5], v[82:83]                    // 000000007218: D3B14052 1802A504
	v_pk_mul_f32 v[68:69], v[4:5], v[68:69]                    // 000000007220: D3B14044 18028904
	v_pk_mul_f32 v[92:93], v[4:5], v[92:93]                    // 000000007228: D3B1405C 1802B904
	v_pk_mul_f32 v[70:71], v[4:5], v[70:71]                    // 000000007230: D3B14046 18028D04
	v_pk_mul_f32 v[94:95], v[4:5], v[94:95]                    // 000000007238: D3B1405E 1802BD04
	v_mul_f32_e32 v35, v35, v102                               // 000000007240: 0A46CD23
	v_mov_b32_e32 v4, v35                                      // 000000007244: 7E080323
	v_mov_b32_e32 v5, v4                                       // 000000007248: 7E0A0304
	v_pk_mul_f32 v[60:61], v[4:5], v[60:61]                    // 00000000724C: D3B1403C 18027904
	v_pk_mul_f32 v[84:85], v[4:5], v[84:85]                    // 000000007254: D3B14054 1802A904
	v_pk_mul_f32 v[62:63], v[4:5], v[62:63]                    // 00000000725C: D3B1403E 18027D04
	v_pk_mul_f32 v[86:87], v[4:5], v[86:87]                    // 000000007264: D3B14056 1802AD04
	v_pk_mul_f32 v[72:73], v[4:5], v[72:73]                    // 00000000726C: D3B14048 18029104
	v_pk_mul_f32 v[96:97], v[4:5], v[96:97]                    // 000000007274: D3B14060 1802C104
	v_pk_mul_f32 v[74:75], v[4:5], v[74:75]                    // 00000000727C: D3B1404A 18029504
	v_pk_mul_f32 v[98:99], v[4:5], v[98:99]                    // 000000007284: D3B14062 1802C504
	s_cmp_eq_u32 s88, 0                                        // 00000000728C: BF068058
	s_cbranch_scc0 label_15C1                                  // 000000007290: BF840399
	s_cmp_eq_u32 s89, 0                                        // 000000007294: BF068059
	s_cbranch_scc1 label_131F                                  // 000000007298: BF8500F5
	v_mov_b32_e32 v8, v1                                       // 00000000729C: 7E100301
	v_mov_b32_e32 v9, v1                                       // 0000000072A0: 7E120301
	s_mov_b32 s60, s6                                          // 0000000072A4: BEBC0006
	s_mov_b32 s61, s6                                          // 0000000072A8: BEBD0006
	v_pk_mul_f32 v[4:5], v[52:53], v[52:53]                    // 0000000072AC: D3B14004 18026934
	v_pk_mul_f32 v[6:7], v[54:55], v[54:55]                    // 0000000072B4: D3B14006 18026D36
	v_pk_fma_f32 v[4:5], v[4:5], s[78:79], v[8:9]              // 0000000072BC: D3B04004 1C209D04
	v_pk_fma_f32 v[6:7], v[6:7], s[78:79], v[8:9]              // 0000000072C4: D3B04006 1C209D06
	v_pk_mul_f32 v[4:5], v[4:5], v[52:53]                      // 0000000072CC: D3B14004 18026904
	v_pk_mul_f32 v[6:7], v[6:7], v[54:55]                      // 0000000072D4: D3B14006 18026D06
	v_pk_mul_f32 v[4:5], v[4:5], s[60:61]                      // 0000000072DC: D3B14004 18007904
	v_pk_mul_f32 v[6:7], v[6:7], s[60:61]                      // 0000000072E4: D3B14006 18007906
	v_exp_f32_e32 v4, v4                                       // 0000000072EC: 7E084104
	v_exp_f32_e32 v5, v5                                       // 0000000072F0: 7E0A4105
	v_exp_f32_e32 v6, v6                                       // 0000000072F4: 7E0C4106
	v_exp_f32_e32 v7, v7                                       // 0000000072F8: 7E0E4107
	v_add_f32_e64 v4, v4, 1.0                                  // 0000000072FC: D1010004 0001E504
	v_add_f32_e64 v5, v5, 1.0                                  // 000000007304: D1010005 0001E505
	v_add_f32_e64 v6, v6, 1.0                                  // 00000000730C: D1010006 0001E506
	v_add_f32_e64 v7, v7, 1.0                                  // 000000007314: D1010007 0001E507
	v_rcp_f32_e32 v4, v4                                       // 00000000731C: 7E084504
	v_rcp_f32_e32 v5, v5                                       // 000000007320: 7E0A4505
	v_rcp_f32_e32 v6, v6                                       // 000000007324: 7E0C4506
	v_rcp_f32_e32 v7, v7                                       // 000000007328: 7E0E4507
	v_mul_f32_e32 v52, v52, v4                                 // 00000000732C: 0A680934
	v_mul_f32_e32 v53, v53, v5                                 // 000000007330: 0A6A0B35
	v_mul_f32_e32 v54, v54, v6                                 // 000000007334: 0A6C0D36
	v_mul_f32_e32 v55, v55, v7                                 // 000000007338: 0A6E0F37
	v_mul_f32_e32 v52, v52, v76                                // 00000000733C: 0A689934
	v_mul_f32_e32 v53, v53, v77                                // 000000007340: 0A6A9B35
	v_mul_f32_e32 v54, v54, v78                                // 000000007344: 0A6C9D36
	v_mul_f32_e32 v55, v55, v79                                // 000000007348: 0A6E9F37
	v_pk_mul_f32 v[4:5], v[56:57], v[56:57]                    // 00000000734C: D3B14004 18027138
	v_pk_mul_f32 v[6:7], v[58:59], v[58:59]                    // 000000007354: D3B14006 1802753A
	v_pk_fma_f32 v[4:5], v[4:5], s[78:79], v[8:9]              // 00000000735C: D3B04004 1C209D04
	v_pk_fma_f32 v[6:7], v[6:7], s[78:79], v[8:9]              // 000000007364: D3B04006 1C209D06
	v_pk_mul_f32 v[4:5], v[4:5], v[56:57]                      // 00000000736C: D3B14004 18027104
	v_pk_mul_f32 v[6:7], v[6:7], v[58:59]                      // 000000007374: D3B14006 18027506
	v_pk_mul_f32 v[4:5], v[4:5], s[60:61]                      // 00000000737C: D3B14004 18007904
	v_pk_mul_f32 v[6:7], v[6:7], s[60:61]                      // 000000007384: D3B14006 18007906
	v_exp_f32_e32 v4, v4                                       // 00000000738C: 7E084104
	v_exp_f32_e32 v5, v5                                       // 000000007390: 7E0A4105
	v_exp_f32_e32 v6, v6                                       // 000000007394: 7E0C4106
	v_exp_f32_e32 v7, v7                                       // 000000007398: 7E0E4107
	v_add_f32_e64 v4, v4, 1.0                                  // 00000000739C: D1010004 0001E504
	v_add_f32_e64 v5, v5, 1.0                                  // 0000000073A4: D1010005 0001E505
	v_add_f32_e64 v6, v6, 1.0                                  // 0000000073AC: D1010006 0001E506
	v_add_f32_e64 v7, v7, 1.0                                  // 0000000073B4: D1010007 0001E507
	v_rcp_f32_e32 v4, v4                                       // 0000000073BC: 7E084504
	v_rcp_f32_e32 v5, v5                                       // 0000000073C0: 7E0A4505
	v_rcp_f32_e32 v6, v6                                       // 0000000073C4: 7E0C4506
	v_rcp_f32_e32 v7, v7                                       // 0000000073C8: 7E0E4507
	v_mul_f32_e32 v56, v56, v4                                 // 0000000073CC: 0A700938
	v_mul_f32_e32 v57, v57, v5                                 // 0000000073D0: 0A720B39
	v_mul_f32_e32 v58, v58, v6                                 // 0000000073D4: 0A740D3A
	v_mul_f32_e32 v59, v59, v7                                 // 0000000073D8: 0A760F3B
	v_mul_f32_e32 v56, v56, v80                                // 0000000073DC: 0A70A138
	v_mul_f32_e32 v57, v57, v81                                // 0000000073E0: 0A72A339
	v_mul_f32_e32 v58, v58, v82                                // 0000000073E4: 0A74A53A
	v_mul_f32_e32 v59, v59, v83                                // 0000000073E8: 0A76A73B
	v_pk_mul_f32 v[4:5], v[60:61], v[60:61]                    // 0000000073EC: D3B14004 1802793C
	v_pk_mul_f32 v[6:7], v[62:63], v[62:63]                    // 0000000073F4: D3B14006 18027D3E
	v_pk_fma_f32 v[4:5], v[4:5], s[78:79], v[8:9]              // 0000000073FC: D3B04004 1C209D04
	v_pk_fma_f32 v[6:7], v[6:7], s[78:79], v[8:9]              // 000000007404: D3B04006 1C209D06
	v_pk_mul_f32 v[4:5], v[4:5], v[60:61]                      // 00000000740C: D3B14004 18027904
	v_pk_mul_f32 v[6:7], v[6:7], v[62:63]                      // 000000007414: D3B14006 18027D06
	v_pk_mul_f32 v[4:5], v[4:5], s[60:61]                      // 00000000741C: D3B14004 18007904
	v_pk_mul_f32 v[6:7], v[6:7], s[60:61]                      // 000000007424: D3B14006 18007906
	v_exp_f32_e32 v4, v4                                       // 00000000742C: 7E084104
	v_exp_f32_e32 v5, v5                                       // 000000007430: 7E0A4105
	v_exp_f32_e32 v6, v6                                       // 000000007434: 7E0C4106
	v_exp_f32_e32 v7, v7                                       // 000000007438: 7E0E4107
	v_add_f32_e64 v4, v4, 1.0                                  // 00000000743C: D1010004 0001E504
	v_add_f32_e64 v5, v5, 1.0                                  // 000000007444: D1010005 0001E505
	v_add_f32_e64 v6, v6, 1.0                                  // 00000000744C: D1010006 0001E506
	v_add_f32_e64 v7, v7, 1.0                                  // 000000007454: D1010007 0001E507
	v_rcp_f32_e32 v4, v4                                       // 00000000745C: 7E084504
	v_rcp_f32_e32 v5, v5                                       // 000000007460: 7E0A4505
	v_rcp_f32_e32 v6, v6                                       // 000000007464: 7E0C4506
	v_rcp_f32_e32 v7, v7                                       // 000000007468: 7E0E4507
	v_mul_f32_e32 v60, v60, v4                                 // 00000000746C: 0A78093C
	v_mul_f32_e32 v61, v61, v5                                 // 000000007470: 0A7A0B3D
	v_mul_f32_e32 v62, v62, v6                                 // 000000007474: 0A7C0D3E
	v_mul_f32_e32 v63, v63, v7                                 // 000000007478: 0A7E0F3F
	v_mul_f32_e32 v60, v60, v84                                // 00000000747C: 0A78A93C
	v_mul_f32_e32 v61, v61, v85                                // 000000007480: 0A7AAB3D
	v_mul_f32_e32 v62, v62, v86                                // 000000007484: 0A7CAD3E
	v_mul_f32_e32 v63, v63, v87                                // 000000007488: 0A7EAF3F
	v_pk_mul_f32 v[4:5], v[64:65], v[64:65]                    // 00000000748C: D3B14004 18028140
	v_pk_mul_f32 v[6:7], v[66:67], v[66:67]                    // 000000007494: D3B14006 18028542
	v_pk_fma_f32 v[4:5], v[4:5], s[78:79], v[8:9]              // 00000000749C: D3B04004 1C209D04
	v_pk_fma_f32 v[6:7], v[6:7], s[78:79], v[8:9]              // 0000000074A4: D3B04006 1C209D06
	v_pk_mul_f32 v[4:5], v[4:5], v[64:65]                      // 0000000074AC: D3B14004 18028104
	v_pk_mul_f32 v[6:7], v[6:7], v[66:67]                      // 0000000074B4: D3B14006 18028506
	v_pk_mul_f32 v[4:5], v[4:5], s[60:61]                      // 0000000074BC: D3B14004 18007904
	v_pk_mul_f32 v[6:7], v[6:7], s[60:61]                      // 0000000074C4: D3B14006 18007906
	v_exp_f32_e32 v4, v4                                       // 0000000074CC: 7E084104
	v_exp_f32_e32 v5, v5                                       // 0000000074D0: 7E0A4105
	v_exp_f32_e32 v6, v6                                       // 0000000074D4: 7E0C4106
	v_exp_f32_e32 v7, v7                                       // 0000000074D8: 7E0E4107
	v_add_f32_e64 v4, v4, 1.0                                  // 0000000074DC: D1010004 0001E504
	v_add_f32_e64 v5, v5, 1.0                                  // 0000000074E4: D1010005 0001E505
	v_add_f32_e64 v6, v6, 1.0                                  // 0000000074EC: D1010006 0001E506
	v_add_f32_e64 v7, v7, 1.0                                  // 0000000074F4: D1010007 0001E507
	v_rcp_f32_e32 v4, v4                                       // 0000000074FC: 7E084504
	v_rcp_f32_e32 v5, v5                                       // 000000007500: 7E0A4505
	v_rcp_f32_e32 v6, v6                                       // 000000007504: 7E0C4506
	v_rcp_f32_e32 v7, v7                                       // 000000007508: 7E0E4507
	v_mul_f32_e32 v64, v64, v4                                 // 00000000750C: 0A800940
	v_mul_f32_e32 v65, v65, v5                                 // 000000007510: 0A820B41
	v_mul_f32_e32 v66, v66, v6                                 // 000000007514: 0A840D42
	v_mul_f32_e32 v67, v67, v7                                 // 000000007518: 0A860F43
	v_mul_f32_e32 v64, v64, v88                                // 00000000751C: 0A80B140
	v_mul_f32_e32 v65, v65, v89                                // 000000007520: 0A82B341
	v_mul_f32_e32 v66, v66, v90                                // 000000007524: 0A84B542
	v_mul_f32_e32 v67, v67, v91                                // 000000007528: 0A86B743
	v_pk_mul_f32 v[4:5], v[68:69], v[68:69]                    // 00000000752C: D3B14004 18028944
	v_pk_mul_f32 v[6:7], v[70:71], v[70:71]                    // 000000007534: D3B14006 18028D46
	v_pk_fma_f32 v[4:5], v[4:5], s[78:79], v[8:9]              // 00000000753C: D3B04004 1C209D04
	v_pk_fma_f32 v[6:7], v[6:7], s[78:79], v[8:9]              // 000000007544: D3B04006 1C209D06
	v_pk_mul_f32 v[4:5], v[4:5], v[68:69]                      // 00000000754C: D3B14004 18028904
	v_pk_mul_f32 v[6:7], v[6:7], v[70:71]                      // 000000007554: D3B14006 18028D06
	v_pk_mul_f32 v[4:5], v[4:5], s[60:61]                      // 00000000755C: D3B14004 18007904
	v_pk_mul_f32 v[6:7], v[6:7], s[60:61]                      // 000000007564: D3B14006 18007906
	v_exp_f32_e32 v4, v4                                       // 00000000756C: 7E084104
	v_exp_f32_e32 v5, v5                                       // 000000007570: 7E0A4105
	v_exp_f32_e32 v6, v6                                       // 000000007574: 7E0C4106
	v_exp_f32_e32 v7, v7                                       // 000000007578: 7E0E4107
	v_add_f32_e64 v4, v4, 1.0                                  // 00000000757C: D1010004 0001E504
	v_add_f32_e64 v5, v5, 1.0                                  // 000000007584: D1010005 0001E505
	v_add_f32_e64 v6, v6, 1.0                                  // 00000000758C: D1010006 0001E506
	v_add_f32_e64 v7, v7, 1.0                                  // 000000007594: D1010007 0001E507
	v_rcp_f32_e32 v4, v4                                       // 00000000759C: 7E084504
	v_rcp_f32_e32 v5, v5                                       // 0000000075A0: 7E0A4505
	v_rcp_f32_e32 v6, v6                                       // 0000000075A4: 7E0C4506
	v_rcp_f32_e32 v7, v7                                       // 0000000075A8: 7E0E4507
	v_mul_f32_e32 v68, v68, v4                                 // 0000000075AC: 0A880944
	v_mul_f32_e32 v69, v69, v5                                 // 0000000075B0: 0A8A0B45
	v_mul_f32_e32 v70, v70, v6                                 // 0000000075B4: 0A8C0D46
	v_mul_f32_e32 v71, v71, v7                                 // 0000000075B8: 0A8E0F47
	v_mul_f32_e32 v68, v68, v92                                // 0000000075BC: 0A88B944
	v_mul_f32_e32 v69, v69, v93                                // 0000000075C0: 0A8ABB45
	v_mul_f32_e32 v70, v70, v94                                // 0000000075C4: 0A8CBD46
	v_mul_f32_e32 v71, v71, v95                                // 0000000075C8: 0A8EBF47
	v_pk_mul_f32 v[4:5], v[72:73], v[72:73]                    // 0000000075CC: D3B14004 18029148
	v_pk_mul_f32 v[6:7], v[74:75], v[74:75]                    // 0000000075D4: D3B14006 1802954A
	v_pk_fma_f32 v[4:5], v[4:5], s[78:79], v[8:9]              // 0000000075DC: D3B04004 1C209D04
	v_pk_fma_f32 v[6:7], v[6:7], s[78:79], v[8:9]              // 0000000075E4: D3B04006 1C209D06
	v_pk_mul_f32 v[4:5], v[4:5], v[72:73]                      // 0000000075EC: D3B14004 18029104
	v_pk_mul_f32 v[6:7], v[6:7], v[74:75]                      // 0000000075F4: D3B14006 18029506
	v_pk_mul_f32 v[4:5], v[4:5], s[60:61]                      // 0000000075FC: D3B14004 18007904
	v_pk_mul_f32 v[6:7], v[6:7], s[60:61]                      // 000000007604: D3B14006 18007906
	v_exp_f32_e32 v4, v4                                       // 00000000760C: 7E084104
	v_exp_f32_e32 v5, v5                                       // 000000007610: 7E0A4105
	v_exp_f32_e32 v6, v6                                       // 000000007614: 7E0C4106
	v_exp_f32_e32 v7, v7                                       // 000000007618: 7E0E4107
	v_add_f32_e64 v4, v4, 1.0                                  // 00000000761C: D1010004 0001E504
	v_add_f32_e64 v5, v5, 1.0                                  // 000000007624: D1010005 0001E505
	v_add_f32_e64 v6, v6, 1.0                                  // 00000000762C: D1010006 0001E506
	v_add_f32_e64 v7, v7, 1.0                                  // 000000007634: D1010007 0001E507
	v_rcp_f32_e32 v4, v4                                       // 00000000763C: 7E084504
	v_rcp_f32_e32 v5, v5                                       // 000000007640: 7E0A4505
	v_rcp_f32_e32 v6, v6                                       // 000000007644: 7E0C4506
	v_rcp_f32_e32 v7, v7                                       // 000000007648: 7E0E4507
	v_mul_f32_e32 v72, v72, v4                                 // 00000000764C: 0A900948
	v_mul_f32_e32 v73, v73, v5                                 // 000000007650: 0A920B49
	v_mul_f32_e32 v74, v74, v6                                 // 000000007654: 0A940D4A
	v_mul_f32_e32 v75, v75, v7                                 // 000000007658: 0A960F4B
	v_mul_f32_e32 v72, v72, v96                                // 00000000765C: 0A90C148
	v_mul_f32_e32 v73, v73, v97                                // 000000007660: 0A92C349
	v_mul_f32_e32 v74, v74, v98                                // 000000007664: 0A94C54A
	v_mul_f32_e32 v75, v75, v99                                // 000000007668: 0A96C74B
	s_branch label_13DF                                        // 00000000766C: BF8200C0

0000000000007670 <label_131F>:
	v_mul_f32_e64 v4, -v52, s6                                 // 000000007670: D1050004 20000D34
	v_mul_f32_e64 v5, -v53, s6                                 // 000000007678: D1050005 20000D35
	v_mul_f32_e64 v6, -v54, s6                                 // 000000007680: D1050006 20000D36
	v_mul_f32_e64 v7, -v55, s6                                 // 000000007688: D1050007 20000D37
	v_exp_f32_e32 v4, v4                                       // 000000007690: 7E084104
	v_exp_f32_e32 v5, v5                                       // 000000007694: 7E0A4105
	v_exp_f32_e32 v6, v6                                       // 000000007698: 7E0C4106
	v_exp_f32_e32 v7, v7                                       // 00000000769C: 7E0E4107
	v_add_f32_e64 v4, v4, 1.0                                  // 0000000076A0: D1010004 0001E504
	v_add_f32_e64 v5, v5, 1.0                                  // 0000000076A8: D1010005 0001E505
	v_add_f32_e64 v6, v6, 1.0                                  // 0000000076B0: D1010006 0001E506
	v_add_f32_e64 v7, v7, 1.0                                  // 0000000076B8: D1010007 0001E507
	v_rcp_f32_e32 v4, v4                                       // 0000000076C0: 7E084504
	v_rcp_f32_e32 v5, v5                                       // 0000000076C4: 7E0A4505
	v_rcp_f32_e32 v6, v6                                       // 0000000076C8: 7E0C4506
	v_rcp_f32_e32 v7, v7                                       // 0000000076CC: 7E0E4507
	v_mul_f32_e32 v52, v52, v4                                 // 0000000076D0: 0A680934
	v_mul_f32_e32 v53, v53, v5                                 // 0000000076D4: 0A6A0B35
	v_mul_f32_e32 v54, v54, v6                                 // 0000000076D8: 0A6C0D36
	v_mul_f32_e32 v55, v55, v7                                 // 0000000076DC: 0A6E0F37
	v_mul_f32_e32 v52, v52, v76                                // 0000000076E0: 0A689934
	v_mul_f32_e32 v53, v53, v77                                // 0000000076E4: 0A6A9B35
	v_mul_f32_e32 v54, v54, v78                                // 0000000076E8: 0A6C9D36
	v_mul_f32_e32 v55, v55, v79                                // 0000000076EC: 0A6E9F37
	v_mul_f32_e64 v4, -v56, s6                                 // 0000000076F0: D1050004 20000D38
	v_mul_f32_e64 v5, -v57, s6                                 // 0000000076F8: D1050005 20000D39
	v_mul_f32_e64 v6, -v58, s6                                 // 000000007700: D1050006 20000D3A
	v_mul_f32_e64 v7, -v59, s6                                 // 000000007708: D1050007 20000D3B
	v_exp_f32_e32 v4, v4                                       // 000000007710: 7E084104
	v_exp_f32_e32 v5, v5                                       // 000000007714: 7E0A4105
	v_exp_f32_e32 v6, v6                                       // 000000007718: 7E0C4106
	v_exp_f32_e32 v7, v7                                       // 00000000771C: 7E0E4107
	v_add_f32_e64 v4, v4, 1.0                                  // 000000007720: D1010004 0001E504
	v_add_f32_e64 v5, v5, 1.0                                  // 000000007728: D1010005 0001E505
	v_add_f32_e64 v6, v6, 1.0                                  // 000000007730: D1010006 0001E506
	v_add_f32_e64 v7, v7, 1.0                                  // 000000007738: D1010007 0001E507
	v_rcp_f32_e32 v4, v4                                       // 000000007740: 7E084504
	v_rcp_f32_e32 v5, v5                                       // 000000007744: 7E0A4505
	v_rcp_f32_e32 v6, v6                                       // 000000007748: 7E0C4506
	v_rcp_f32_e32 v7, v7                                       // 00000000774C: 7E0E4507
	v_mul_f32_e32 v56, v56, v4                                 // 000000007750: 0A700938
	v_mul_f32_e32 v57, v57, v5                                 // 000000007754: 0A720B39
	v_mul_f32_e32 v58, v58, v6                                 // 000000007758: 0A740D3A
	v_mul_f32_e32 v59, v59, v7                                 // 00000000775C: 0A760F3B
	v_mul_f32_e32 v56, v56, v80                                // 000000007760: 0A70A138
	v_mul_f32_e32 v57, v57, v81                                // 000000007764: 0A72A339
	v_mul_f32_e32 v58, v58, v82                                // 000000007768: 0A74A53A
	v_mul_f32_e32 v59, v59, v83                                // 00000000776C: 0A76A73B
	v_mul_f32_e64 v4, -v60, s6                                 // 000000007770: D1050004 20000D3C
	v_mul_f32_e64 v5, -v61, s6                                 // 000000007778: D1050005 20000D3D
	v_mul_f32_e64 v6, -v62, s6                                 // 000000007780: D1050006 20000D3E
	v_mul_f32_e64 v7, -v63, s6                                 // 000000007788: D1050007 20000D3F
	v_exp_f32_e32 v4, v4                                       // 000000007790: 7E084104
	v_exp_f32_e32 v5, v5                                       // 000000007794: 7E0A4105
	v_exp_f32_e32 v6, v6                                       // 000000007798: 7E0C4106
	v_exp_f32_e32 v7, v7                                       // 00000000779C: 7E0E4107
	v_add_f32_e64 v4, v4, 1.0                                  // 0000000077A0: D1010004 0001E504
	v_add_f32_e64 v5, v5, 1.0                                  // 0000000077A8: D1010005 0001E505
	v_add_f32_e64 v6, v6, 1.0                                  // 0000000077B0: D1010006 0001E506
	v_add_f32_e64 v7, v7, 1.0                                  // 0000000077B8: D1010007 0001E507
	v_rcp_f32_e32 v4, v4                                       // 0000000077C0: 7E084504
	v_rcp_f32_e32 v5, v5                                       // 0000000077C4: 7E0A4505
	v_rcp_f32_e32 v6, v6                                       // 0000000077C8: 7E0C4506
	v_rcp_f32_e32 v7, v7                                       // 0000000077CC: 7E0E4507
	v_mul_f32_e32 v60, v60, v4                                 // 0000000077D0: 0A78093C
	v_mul_f32_e32 v61, v61, v5                                 // 0000000077D4: 0A7A0B3D
	v_mul_f32_e32 v62, v62, v6                                 // 0000000077D8: 0A7C0D3E
	v_mul_f32_e32 v63, v63, v7                                 // 0000000077DC: 0A7E0F3F
	v_mul_f32_e32 v60, v60, v84                                // 0000000077E0: 0A78A93C
	v_mul_f32_e32 v61, v61, v85                                // 0000000077E4: 0A7AAB3D
	v_mul_f32_e32 v62, v62, v86                                // 0000000077E8: 0A7CAD3E
	v_mul_f32_e32 v63, v63, v87                                // 0000000077EC: 0A7EAF3F
	v_mul_f32_e64 v4, -v64, s6                                 // 0000000077F0: D1050004 20000D40
	v_mul_f32_e64 v5, -v65, s6                                 // 0000000077F8: D1050005 20000D41
	v_mul_f32_e64 v6, -v66, s6                                 // 000000007800: D1050006 20000D42
	v_mul_f32_e64 v7, -v67, s6                                 // 000000007808: D1050007 20000D43
	v_exp_f32_e32 v4, v4                                       // 000000007810: 7E084104
	v_exp_f32_e32 v5, v5                                       // 000000007814: 7E0A4105
	v_exp_f32_e32 v6, v6                                       // 000000007818: 7E0C4106
	v_exp_f32_e32 v7, v7                                       // 00000000781C: 7E0E4107
	v_add_f32_e64 v4, v4, 1.0                                  // 000000007820: D1010004 0001E504
	v_add_f32_e64 v5, v5, 1.0                                  // 000000007828: D1010005 0001E505
	v_add_f32_e64 v6, v6, 1.0                                  // 000000007830: D1010006 0001E506
	v_add_f32_e64 v7, v7, 1.0                                  // 000000007838: D1010007 0001E507
	v_rcp_f32_e32 v4, v4                                       // 000000007840: 7E084504
	v_rcp_f32_e32 v5, v5                                       // 000000007844: 7E0A4505
	v_rcp_f32_e32 v6, v6                                       // 000000007848: 7E0C4506
	v_rcp_f32_e32 v7, v7                                       // 00000000784C: 7E0E4507
	v_mul_f32_e32 v64, v64, v4                                 // 000000007850: 0A800940
	v_mul_f32_e32 v65, v65, v5                                 // 000000007854: 0A820B41
	v_mul_f32_e32 v66, v66, v6                                 // 000000007858: 0A840D42
	v_mul_f32_e32 v67, v67, v7                                 // 00000000785C: 0A860F43
	v_mul_f32_e32 v64, v64, v88                                // 000000007860: 0A80B140
	v_mul_f32_e32 v65, v65, v89                                // 000000007864: 0A82B341
	v_mul_f32_e32 v66, v66, v90                                // 000000007868: 0A84B542
	v_mul_f32_e32 v67, v67, v91                                // 00000000786C: 0A86B743
	v_mul_f32_e64 v4, -v68, s6                                 // 000000007870: D1050004 20000D44
	v_mul_f32_e64 v5, -v69, s6                                 // 000000007878: D1050005 20000D45
	v_mul_f32_e64 v6, -v70, s6                                 // 000000007880: D1050006 20000D46
	v_mul_f32_e64 v7, -v71, s6                                 // 000000007888: D1050007 20000D47
	v_exp_f32_e32 v4, v4                                       // 000000007890: 7E084104
	v_exp_f32_e32 v5, v5                                       // 000000007894: 7E0A4105
	v_exp_f32_e32 v6, v6                                       // 000000007898: 7E0C4106
	v_exp_f32_e32 v7, v7                                       // 00000000789C: 7E0E4107
	v_add_f32_e64 v4, v4, 1.0                                  // 0000000078A0: D1010004 0001E504
	v_add_f32_e64 v5, v5, 1.0                                  // 0000000078A8: D1010005 0001E505
	v_add_f32_e64 v6, v6, 1.0                                  // 0000000078B0: D1010006 0001E506
	v_add_f32_e64 v7, v7, 1.0                                  // 0000000078B8: D1010007 0001E507
	v_rcp_f32_e32 v4, v4                                       // 0000000078C0: 7E084504
	v_rcp_f32_e32 v5, v5                                       // 0000000078C4: 7E0A4505
	v_rcp_f32_e32 v6, v6                                       // 0000000078C8: 7E0C4506
	v_rcp_f32_e32 v7, v7                                       // 0000000078CC: 7E0E4507
	v_mul_f32_e32 v68, v68, v4                                 // 0000000078D0: 0A880944
	v_mul_f32_e32 v69, v69, v5                                 // 0000000078D4: 0A8A0B45
	v_mul_f32_e32 v70, v70, v6                                 // 0000000078D8: 0A8C0D46
	v_mul_f32_e32 v71, v71, v7                                 // 0000000078DC: 0A8E0F47
	v_mul_f32_e32 v68, v68, v92                                // 0000000078E0: 0A88B944
	v_mul_f32_e32 v69, v69, v93                                // 0000000078E4: 0A8ABB45
	v_mul_f32_e32 v70, v70, v94                                // 0000000078E8: 0A8CBD46
	v_mul_f32_e32 v71, v71, v95                                // 0000000078EC: 0A8EBF47
	v_mul_f32_e64 v4, -v72, s6                                 // 0000000078F0: D1050004 20000D48
	v_mul_f32_e64 v5, -v73, s6                                 // 0000000078F8: D1050005 20000D49
	v_mul_f32_e64 v6, -v74, s6                                 // 000000007900: D1050006 20000D4A
	v_mul_f32_e64 v7, -v75, s6                                 // 000000007908: D1050007 20000D4B
	v_exp_f32_e32 v4, v4                                       // 000000007910: 7E084104
	v_exp_f32_e32 v5, v5                                       // 000000007914: 7E0A4105
	v_exp_f32_e32 v6, v6                                       // 000000007918: 7E0C4106
	v_exp_f32_e32 v7, v7                                       // 00000000791C: 7E0E4107
	v_add_f32_e64 v4, v4, 1.0                                  // 000000007920: D1010004 0001E504
	v_add_f32_e64 v5, v5, 1.0                                  // 000000007928: D1010005 0001E505
	v_add_f32_e64 v6, v6, 1.0                                  // 000000007930: D1010006 0001E506
	v_add_f32_e64 v7, v7, 1.0                                  // 000000007938: D1010007 0001E507
	v_rcp_f32_e32 v4, v4                                       // 000000007940: 7E084504
	v_rcp_f32_e32 v5, v5                                       // 000000007944: 7E0A4505
	v_rcp_f32_e32 v6, v6                                       // 000000007948: 7E0C4506
	v_rcp_f32_e32 v7, v7                                       // 00000000794C: 7E0E4507
	v_mul_f32_e32 v72, v72, v4                                 // 000000007950: 0A900948
	v_mul_f32_e32 v73, v73, v5                                 // 000000007954: 0A920B49
	v_mul_f32_e32 v74, v74, v6                                 // 000000007958: 0A940D4A
	v_mul_f32_e32 v75, v75, v7                                 // 00000000795C: 0A960F4B
	v_mul_f32_e32 v72, v72, v96                                // 000000007960: 0A90C148
	v_mul_f32_e32 v73, v73, v97                                // 000000007964: 0A92C349
	v_mul_f32_e32 v74, v74, v98                                // 000000007968: 0A94C54A
	v_mul_f32_e32 v75, v75, v99                                // 00000000796C: 0A96C74B

0000000000007970 <label_13DF>:
	v_cmp_u_f32_e64 s[46:47], v52, v52                         // 000000007970: D048002E 00026934
	v_add3_u32 v16, v52, v19, 1                                // 000000007978: D1FF0010 02062734
	v_cndmask_b32_e64 v4, v16, v18, s[46:47]                   // 000000007980: D1000004 00BA2510
	v_cmp_u_f32_e64 s[46:47], v53, v53                         // 000000007988: D048002E 00026B35
	v_add3_u32 v16, v53, v19, 1                                // 000000007990: D1FF0010 02062735
	v_cndmask_b32_e64 v5, v16, v18, s[46:47]                   // 000000007998: D1000005 00BA2510
	v_perm_b32 v52, v5, v4, s52                                // 0000000079A0: D1ED0034 00D20905
	v_cmp_u_f32_e64 s[46:47], v54, v54                         // 0000000079A8: D048002E 00026D36
	v_add3_u32 v16, v54, v19, 1                                // 0000000079B0: D1FF0010 02062736
	v_cndmask_b32_e64 v4, v16, v18, s[46:47]                   // 0000000079B8: D1000004 00BA2510
	v_cmp_u_f32_e64 s[46:47], v55, v55                         // 0000000079C0: D048002E 00026F37
	v_add3_u32 v16, v55, v19, 1                                // 0000000079C8: D1FF0010 02062737
	v_cndmask_b32_e64 v5, v16, v18, s[46:47]                   // 0000000079D0: D1000005 00BA2510
	v_perm_b32 v53, v5, v4, s52                                // 0000000079D8: D1ED0035 00D20905
	v_cmp_u_f32_e64 s[46:47], v56, v56                         // 0000000079E0: D048002E 00027138
	v_add3_u32 v16, v56, v19, 1                                // 0000000079E8: D1FF0010 02062738
	v_cndmask_b32_e64 v4, v16, v18, s[46:47]                   // 0000000079F0: D1000004 00BA2510
	v_cmp_u_f32_e64 s[46:47], v57, v57                         // 0000000079F8: D048002E 00027339
	v_add3_u32 v16, v57, v19, 1                                // 000000007A00: D1FF0010 02062739
	v_cndmask_b32_e64 v5, v16, v18, s[46:47]                   // 000000007A08: D1000005 00BA2510
	v_perm_b32 v54, v5, v4, s52                                // 000000007A10: D1ED0036 00D20905
	v_cmp_u_f32_e64 s[46:47], v58, v58                         // 000000007A18: D048002E 0002753A
	v_add3_u32 v16, v58, v19, 1                                // 000000007A20: D1FF0010 0206273A
	v_cndmask_b32_e64 v4, v16, v18, s[46:47]                   // 000000007A28: D1000004 00BA2510
	v_cmp_u_f32_e64 s[46:47], v59, v59                         // 000000007A30: D048002E 0002773B
	v_add3_u32 v16, v59, v19, 1                                // 000000007A38: D1FF0010 0206273B
	v_cndmask_b32_e64 v5, v16, v18, s[46:47]                   // 000000007A40: D1000005 00BA2510
	v_perm_b32 v55, v5, v4, s52                                // 000000007A48: D1ED0037 00D20905
	v_cmp_u_f32_e64 s[46:47], v60, v60                         // 000000007A50: D048002E 0002793C
	v_add3_u32 v16, v60, v19, 1                                // 000000007A58: D1FF0010 0206273C
	v_cndmask_b32_e64 v4, v16, v18, s[46:47]                   // 000000007A60: D1000004 00BA2510
	v_cmp_u_f32_e64 s[46:47], v61, v61                         // 000000007A68: D048002E 00027B3D
	v_add3_u32 v16, v61, v19, 1                                // 000000007A70: D1FF0010 0206273D
	v_cndmask_b32_e64 v5, v16, v18, s[46:47]                   // 000000007A78: D1000005 00BA2510
	v_perm_b32 v56, v5, v4, s52                                // 000000007A80: D1ED0038 00D20905
	v_cmp_u_f32_e64 s[46:47], v62, v62                         // 000000007A88: D048002E 00027D3E
	v_add3_u32 v16, v62, v19, 1                                // 000000007A90: D1FF0010 0206273E
	v_cndmask_b32_e64 v4, v16, v18, s[46:47]                   // 000000007A98: D1000004 00BA2510
	v_cmp_u_f32_e64 s[46:47], v63, v63                         // 000000007AA0: D048002E 00027F3F
	v_add3_u32 v16, v63, v19, 1                                // 000000007AA8: D1FF0010 0206273F
	v_cndmask_b32_e64 v5, v16, v18, s[46:47]                   // 000000007AB0: D1000005 00BA2510
	v_perm_b32 v57, v5, v4, s52                                // 000000007AB8: D1ED0039 00D20905
	v_cmp_u_f32_e64 s[46:47], v64, v64                         // 000000007AC0: D048002E 00028140
	v_add3_u32 v16, v64, v19, 1                                // 000000007AC8: D1FF0010 02062740
	v_cndmask_b32_e64 v4, v16, v18, s[46:47]                   // 000000007AD0: D1000004 00BA2510
	v_cmp_u_f32_e64 s[46:47], v65, v65                         // 000000007AD8: D048002E 00028341
	v_add3_u32 v16, v65, v19, 1                                // 000000007AE0: D1FF0010 02062741
	v_cndmask_b32_e64 v5, v16, v18, s[46:47]                   // 000000007AE8: D1000005 00BA2510
	v_perm_b32 v58, v5, v4, s52                                // 000000007AF0: D1ED003A 00D20905
	v_cmp_u_f32_e64 s[46:47], v66, v66                         // 000000007AF8: D048002E 00028542
	v_add3_u32 v16, v66, v19, 1                                // 000000007B00: D1FF0010 02062742
	v_cndmask_b32_e64 v4, v16, v18, s[46:47]                   // 000000007B08: D1000004 00BA2510
	v_cmp_u_f32_e64 s[46:47], v67, v67                         // 000000007B10: D048002E 00028743
	v_add3_u32 v16, v67, v19, 1                                // 000000007B18: D1FF0010 02062743
	v_cndmask_b32_e64 v5, v16, v18, s[46:47]                   // 000000007B20: D1000005 00BA2510
	v_perm_b32 v59, v5, v4, s52                                // 000000007B28: D1ED003B 00D20905
	v_cmp_u_f32_e64 s[46:47], v68, v68                         // 000000007B30: D048002E 00028944
	v_add3_u32 v16, v68, v19, 1                                // 000000007B38: D1FF0010 02062744
	v_cndmask_b32_e64 v4, v16, v18, s[46:47]                   // 000000007B40: D1000004 00BA2510
	v_cmp_u_f32_e64 s[46:47], v69, v69                         // 000000007B48: D048002E 00028B45
	v_add3_u32 v16, v69, v19, 1                                // 000000007B50: D1FF0010 02062745
	v_cndmask_b32_e64 v5, v16, v18, s[46:47]                   // 000000007B58: D1000005 00BA2510
	v_perm_b32 v60, v5, v4, s52                                // 000000007B60: D1ED003C 00D20905
	v_cmp_u_f32_e64 s[46:47], v70, v70                         // 000000007B68: D048002E 00028D46
	v_add3_u32 v16, v70, v19, 1                                // 000000007B70: D1FF0010 02062746
	v_cndmask_b32_e64 v4, v16, v18, s[46:47]                   // 000000007B78: D1000004 00BA2510
	v_cmp_u_f32_e64 s[46:47], v71, v71                         // 000000007B80: D048002E 00028F47
	v_add3_u32 v16, v71, v19, 1                                // 000000007B88: D1FF0010 02062747
	v_cndmask_b32_e64 v5, v16, v18, s[46:47]                   // 000000007B90: D1000005 00BA2510
	v_perm_b32 v61, v5, v4, s52                                // 000000007B98: D1ED003D 00D20905
	v_cmp_u_f32_e64 s[46:47], v72, v72                         // 000000007BA0: D048002E 00029148
	v_add3_u32 v16, v72, v19, 1                                // 000000007BA8: D1FF0010 02062748
	v_cndmask_b32_e64 v4, v16, v18, s[46:47]                   // 000000007BB0: D1000004 00BA2510
	v_cmp_u_f32_e64 s[46:47], v73, v73                         // 000000007BB8: D048002E 00029349
	v_add3_u32 v16, v73, v19, 1                                // 000000007BC0: D1FF0010 02062749
	v_cndmask_b32_e64 v5, v16, v18, s[46:47]                   // 000000007BC8: D1000005 00BA2510
	v_perm_b32 v62, v5, v4, s52                                // 000000007BD0: D1ED003E 00D20905
	v_cmp_u_f32_e64 s[46:47], v74, v74                         // 000000007BD8: D048002E 0002954A
	v_add3_u32 v16, v74, v19, 1                                // 000000007BE0: D1FF0010 0206274A
	v_cndmask_b32_e64 v4, v16, v18, s[46:47]                   // 000000007BE8: D1000004 00BA2510
	v_cmp_u_f32_e64 s[46:47], v75, v75                         // 000000007BF0: D048002E 0002974B
	v_add3_u32 v16, v75, v19, 1                                // 000000007BF8: D1FF0010 0206274B
	v_cndmask_b32_e64 v5, v16, v18, s[46:47]                   // 000000007C00: D1000005 00BA2510
	v_perm_b32 v63, v5, v4, s52                                // 000000007C08: D1ED003F 00D20905
	ds_write_b64 v20, v[52:53]                                 // 000000007C10: D89A0000 00003414
	ds_write_b64 v20, v[54:55] offset:4352                     // 000000007C18: D89A1100 00003614
	ds_write_b64 v20, v[56:57] offset:8704                     // 000000007C20: D89A2200 00003814
	ds_write_b64 v20, v[58:59] offset:2176                     // 000000007C28: D89A0880 00003A14
	ds_write_b64 v20, v[60:61] offset:6528                     // 000000007C30: D89A1980 00003C14
	ds_write_b64 v20, v[62:63] offset:10880                    // 000000007C38: D89A2A80 00003E14
	v_lshrrev_b32_e32 v4, 5, v0                                // 000000007C40: 20080085
	v_xor_b32_e32 v5, 1, v4                                    // 000000007C44: 2A0A0881
	s_mul_i32 s60, s65, 2                                      // 000000007C48: 923C8241
	s_cmp_eq_u32 s88, 0                                        // 000000007C4C: BF068058
	s_cselect_b32 s61, 1, 4                                    // 000000007C50: 853D8481
	s_mul_i32 s60, s61, s60                                    // 000000007C54: 923C3C3D
	v_readlane_b32 s82, v3, 0                                  // 000000007C58: D2890052 00010103
	s_lshr_b32 s61, s82, 24                                    // 000000007C60: 8F3D9852
	s_and_b32 s82, s82, 0xffffff                               // 000000007C64: 8652FF52 00FFFFFF
	s_mul_i32 s82, s82, s71                                    // 000000007C6C: 92524752
	s_mul_i32 s61, s60, s61                                    // 000000007C70: 923D3D3C
	s_add_u32 s82, s82, s61                                    // 000000007C74: 80523D52
	v_mul_lo_u32 v6, v5, s82                                   // 000000007C78: D2850006 0000A505
	v_readlane_b32 s82, v3, 1                                  // 000000007C80: D2890052 00010303
	s_lshr_b32 s61, s82, 24                                    // 000000007C88: 8F3D9852
	s_and_b32 s82, s82, 0xffffff                               // 000000007C8C: 8652FF52 00FFFFFF
	s_mul_i32 s82, s82, s71                                    // 000000007C94: 92524752
	s_mul_i32 s61, s60, s61                                    // 000000007C98: 923D3D3C
	s_add_u32 s82, s82, s61                                    // 000000007C9C: 80523D52
	v_mul_lo_u32 v7, v4, s82                                   // 000000007CA0: D2850007 0000A504
	v_add_u32_e32 v42, v6, v7                                  // 000000007CA8: 68540F06
	v_readlane_b32 s82, v3, 2                                  // 000000007CAC: D2890052 00010503
	s_lshr_b32 s61, s82, 24                                    // 000000007CB4: 8F3D9852
	s_and_b32 s82, s82, 0xffffff                               // 000000007CB8: 8652FF52 00FFFFFF
	s_mul_i32 s82, s82, s71                                    // 000000007CC0: 92524752
	s_mul_i32 s61, s60, s61                                    // 000000007CC4: 923D3D3C
	s_add_u32 s82, s82, s61                                    // 000000007CC8: 80523D52
	v_mul_lo_u32 v6, v5, s82                                   // 000000007CCC: D2850006 0000A505
	v_readlane_b32 s82, v3, 3                                  // 000000007CD4: D2890052 00010703
	s_lshr_b32 s61, s82, 24                                    // 000000007CDC: 8F3D9852
	s_and_b32 s82, s82, 0xffffff                               // 000000007CE0: 8652FF52 00FFFFFF
	s_mul_i32 s82, s82, s71                                    // 000000007CE8: 92524752
	s_mul_i32 s61, s60, s61                                    // 000000007CEC: 923D3D3C
	s_add_u32 s82, s82, s61                                    // 000000007CF0: 80523D52
	v_mul_lo_u32 v7, v4, s82                                   // 000000007CF4: D2850007 0000A504
	v_add_u32_e32 v43, v6, v7                                  // 000000007CFC: 68560F06
	v_readlane_b32 s82, v3, 4                                  // 000000007D00: D2890052 00010903
	s_lshr_b32 s61, s82, 24                                    // 000000007D08: 8F3D9852
	s_and_b32 s82, s82, 0xffffff                               // 000000007D0C: 8652FF52 00FFFFFF
	s_mul_i32 s82, s82, s71                                    // 000000007D14: 92524752
	s_mul_i32 s61, s60, s61                                    // 000000007D18: 923D3D3C
	s_add_u32 s82, s82, s61                                    // 000000007D1C: 80523D52
	v_mul_lo_u32 v6, v5, s82                                   // 000000007D20: D2850006 0000A505
	v_readlane_b32 s82, v3, 5                                  // 000000007D28: D2890052 00010B03
	s_lshr_b32 s61, s82, 24                                    // 000000007D30: 8F3D9852
	s_and_b32 s82, s82, 0xffffff                               // 000000007D34: 8652FF52 00FFFFFF
	s_mul_i32 s82, s82, s71                                    // 000000007D3C: 92524752
	s_mul_i32 s61, s60, s61                                    // 000000007D40: 923D3D3C
	s_add_u32 s82, s82, s61                                    // 000000007D44: 80523D52
	v_mul_lo_u32 v7, v4, s82                                   // 000000007D48: D2850007 0000A504
	v_add_u32_e32 v44, v6, v7                                  // 000000007D50: 68580F06
	v_readlane_b32 s82, v3, 6                                  // 000000007D54: D2890052 00010D03
	s_lshr_b32 s61, s82, 24                                    // 000000007D5C: 8F3D9852
	s_and_b32 s82, s82, 0xffffff                               // 000000007D60: 8652FF52 00FFFFFF
	s_mul_i32 s82, s82, s71                                    // 000000007D68: 92524752
	s_mul_i32 s61, s60, s61                                    // 000000007D6C: 923D3D3C
	s_add_u32 s82, s82, s61                                    // 000000007D70: 80523D52
	v_mul_lo_u32 v6, v5, s82                                   // 000000007D74: D2850006 0000A505
	v_readlane_b32 s82, v3, 7                                  // 000000007D7C: D2890052 00010F03
	s_lshr_b32 s61, s82, 24                                    // 000000007D84: 8F3D9852
	s_and_b32 s82, s82, 0xffffff                               // 000000007D88: 8652FF52 00FFFFFF
	s_mul_i32 s82, s82, s71                                    // 000000007D90: 92524752
	s_mul_i32 s61, s60, s61                                    // 000000007D94: 923D3D3C
	s_add_u32 s82, s82, s61                                    // 000000007D98: 80523D52
	v_mul_lo_u32 v7, v4, s82                                   // 000000007D9C: D2850007 0000A504
	v_add_u32_e32 v45, v6, v7                                  // 000000007DA4: 685A0F06
	v_readlane_b32 s82, v3, 8                                  // 000000007DA8: D2890052 00011103
	s_lshr_b32 s61, s82, 24                                    // 000000007DB0: 8F3D9852
	s_and_b32 s82, s82, 0xffffff                               // 000000007DB4: 8652FF52 00FFFFFF
	s_mul_i32 s82, s82, s71                                    // 000000007DBC: 92524752
	s_mul_i32 s61, s60, s61                                    // 000000007DC0: 923D3D3C
	s_add_u32 s82, s82, s61                                    // 000000007DC4: 80523D52
	v_mul_lo_u32 v6, v5, s82                                   // 000000007DC8: D2850006 0000A505
	v_readlane_b32 s82, v3, 9                                  // 000000007DD0: D2890052 00011303
	s_lshr_b32 s61, s82, 24                                    // 000000007DD8: 8F3D9852
	s_and_b32 s82, s82, 0xffffff                               // 000000007DDC: 8652FF52 00FFFFFF
	s_mul_i32 s82, s82, s71                                    // 000000007DE4: 92524752
	s_mul_i32 s61, s60, s61                                    // 000000007DE8: 923D3D3C
	s_add_u32 s82, s82, s61                                    // 000000007DEC: 80523D52
	v_mul_lo_u32 v7, v4, s82                                   // 000000007DF0: D2850007 0000A504
	v_add_u32_e32 v46, v6, v7                                  // 000000007DF8: 685C0F06
	v_readlane_b32 s82, v3, 10                                 // 000000007DFC: D2890052 00011503
	s_lshr_b32 s61, s82, 24                                    // 000000007E04: 8F3D9852
	s_and_b32 s82, s82, 0xffffff                               // 000000007E08: 8652FF52 00FFFFFF
	s_mul_i32 s82, s82, s71                                    // 000000007E10: 92524752
	s_mul_i32 s61, s60, s61                                    // 000000007E14: 923D3D3C
	s_add_u32 s82, s82, s61                                    // 000000007E18: 80523D52
	v_mul_lo_u32 v6, v5, s82                                   // 000000007E1C: D2850006 0000A505
	v_readlane_b32 s82, v3, 11                                 // 000000007E24: D2890052 00011703
	s_lshr_b32 s61, s82, 24                                    // 000000007E2C: 8F3D9852
	s_and_b32 s82, s82, 0xffffff                               // 000000007E30: 8652FF52 00FFFFFF
	s_mul_i32 s82, s82, s71                                    // 000000007E38: 92524752
	s_mul_i32 s61, s60, s61                                    // 000000007E3C: 923D3D3C
	s_add_u32 s82, s82, s61                                    // 000000007E40: 80523D52
	v_mul_lo_u32 v7, v4, s82                                   // 000000007E44: D2850007 0000A504
	v_add_u32_e32 v47, v6, v7                                  // 000000007E4C: 685E0F06
	v_and_b32_e32 v4, 31, v0                                   // 000000007E50: 2608009F
	v_lshrrev_b32_e32 v4, 1, v4                                // 000000007E54: 20080881
	s_cmp_eq_u32 s88, 0                                        // 000000007E58: BF068058
	s_cselect_b32 s61, 2, 4                                    // 000000007E5C: 853D8482
	v_mul_lo_u32 v4, v4, s61                                   // 000000007E60: D2850004 00007B04
	v_and_b32_e64 v5, v0, 1                                    // 000000007E68: D1130005 00010300
	v_add_u32_e32 v4, v4, v5                                   // 000000007E70: 68080B04
	v_lshlrev_b32_e32 v4, 2, v4                                // 000000007E74: 24080882
	v_add_u32_e32 v42, v42, v4                                 // 000000007E78: 6854092A
	v_add_u32_e32 v43, v43, v4                                 // 000000007E7C: 6856092B
	v_add_u32_e32 v44, v44, v4                                 // 000000007E80: 6858092C
	v_add_u32_e32 v45, v45, v4                                 // 000000007E84: 685A092D
	v_add_u32_e32 v46, v46, v4                                 // 000000007E88: 685C092E
	v_add_u32_e32 v47, v47, v4                                 // 000000007E8C: 685E092F
	s_waitcnt lgkmcnt(0)                                       // 000000007E90: BF8CC07F
	s_barrier                                                  // 000000007E94: BF8A0000
	ds_read_b32 v52, v21                                       // 000000007E98: D86C0000 34000015
	ds_read_b32 v53, v21 offset:64                             // 000000007EA0: D86C0040 35000015
	ds_read_b32 v54, v21 offset:2176                           // 000000007EA8: D86C0880 36000015
	ds_read_b32 v55, v21 offset:2240                           // 000000007EB0: D86C08C0 37000015
	ds_read_b32 v56, v21 offset:4352                           // 000000007EB8: D86C1100 38000015
	ds_read_b32 v57, v21 offset:4416                           // 000000007EC0: D86C1140 39000015
	ds_read_b32 v58, v21 offset:6528                           // 000000007EC8: D86C1980 3A000015
	ds_read_b32 v59, v21 offset:6592                           // 000000007ED0: D86C19C0 3B000015
	ds_read_b32 v60, v21 offset:8704                           // 000000007ED8: D86C2200 3C000015
	ds_read_b32 v61, v21 offset:8768                           // 000000007EE0: D86C2240 3D000015
	ds_read_b32 v62, v21 offset:10880                          // 000000007EE8: D86C2A80 3E000015
	ds_read_b32 v63, v21 offset:10944                          // 000000007EF0: D86C2AC0 3F000015
	s_waitcnt lgkmcnt(0)                                       // 000000007EF8: BF8CC07F
	s_mov_b32 s36, -1                                          // 000000007EFC: BEA400C1
	s_mov_b32 s37, -1                                          // 000000007F00: BEA500C1
	v_mov_b32_e32 v7, 0                                        // 000000007F04: 7E0E0280
	s_or_b32 s9, s9, 0x40000                                   // 000000007F08: 8709FF09 00040000
	s_mov_b64 exec, s[36:37]                                   // 000000007F10: BEFE0124
	v_mov_b32_e32 v6, v42                                      // 000000007F14: 7E0C032A
	s_mov_b64 s[60:61], 0                                      // 000000007F18: BEBC0180
	v_readlane_b32 s82, v3, 0                                  // 000000007F1C: D2890052 00010103
	s_and_b32 s82, s82, 0xffffff                               // 000000007F24: 8652FF52 00FFFFFF
	s_cmp_lt_u32 s82, s66                                      // 000000007F2C: BF0A4252
	s_cselect_b32 s20, s36, s60                                // 000000007F30: 85143C24
	v_readlane_b32 s82, v3, 1                                  // 000000007F34: D2890052 00010303
	s_and_b32 s82, s82, 0xffffff                               // 000000007F3C: 8652FF52 00FFFFFF
	s_cmp_lt_u32 s82, s66                                      // 000000007F44: BF0A4252
	s_cselect_b32 s21, s36, s60                                // 000000007F48: 85153C24
	s_mov_b64 exec, s[20:21]                                   // 000000007F4C: BEFE0114
	buffer_store_dword v52, v6, s[8:11], 0 offen               // 000000007F50: E0701000 80023406
	buffer_store_dword v54, v6, s[8:11], 0 offen offset:128    // 000000007F58: E0701080 80023606
	s_mov_b64 exec, s[36:37]                                   // 000000007F60: BEFE0124
	v_mov_b32_e32 v6, v43                                      // 000000007F64: 7E0C032B
	s_mov_b64 s[60:61], 0                                      // 000000007F68: BEBC0180
	v_readlane_b32 s82, v3, 2                                  // 000000007F6C: D2890052 00010503
	s_and_b32 s82, s82, 0xffffff                               // 000000007F74: 8652FF52 00FFFFFF
	s_cmp_lt_u32 s82, s66                                      // 000000007F7C: BF0A4252
	s_cselect_b32 s20, s36, s60                                // 000000007F80: 85143C24
	v_readlane_b32 s82, v3, 3                                  // 000000007F84: D2890052 00010703
	s_and_b32 s82, s82, 0xffffff                               // 000000007F8C: 8652FF52 00FFFFFF
	s_cmp_lt_u32 s82, s66                                      // 000000007F94: BF0A4252
	s_cselect_b32 s21, s36, s60                                // 000000007F98: 85153C24
	s_mov_b64 exec, s[20:21]                                   // 000000007F9C: BEFE0114
	buffer_store_dword v53, v6, s[8:11], 0 offen               // 000000007FA0: E0701000 80023506
	buffer_store_dword v55, v6, s[8:11], 0 offen offset:128    // 000000007FA8: E0701080 80023706
	s_mov_b64 exec, s[36:37]                                   // 000000007FB0: BEFE0124
	v_mov_b32_e32 v6, v44                                      // 000000007FB4: 7E0C032C
	s_mov_b64 s[60:61], 0                                      // 000000007FB8: BEBC0180
	v_readlane_b32 s82, v3, 4                                  // 000000007FBC: D2890052 00010903
	s_and_b32 s82, s82, 0xffffff                               // 000000007FC4: 8652FF52 00FFFFFF
	s_cmp_lt_u32 s82, s66                                      // 000000007FCC: BF0A4252
	s_cselect_b32 s20, s36, s60                                // 000000007FD0: 85143C24
	v_readlane_b32 s82, v3, 5                                  // 000000007FD4: D2890052 00010B03
	s_and_b32 s82, s82, 0xffffff                               // 000000007FDC: 8652FF52 00FFFFFF
	s_cmp_lt_u32 s82, s66                                      // 000000007FE4: BF0A4252
	s_cselect_b32 s21, s36, s60                                // 000000007FE8: 85153C24
	s_mov_b64 exec, s[20:21]                                   // 000000007FEC: BEFE0114
	buffer_store_dword v56, v6, s[8:11], 0 offen               // 000000007FF0: E0701000 80023806
	buffer_store_dword v58, v6, s[8:11], 0 offen offset:128    // 000000007FF8: E0701080 80023A06
	s_mov_b64 exec, s[36:37]                                   // 000000008000: BEFE0124
	v_mov_b32_e32 v6, v45                                      // 000000008004: 7E0C032D
	s_mov_b64 s[60:61], 0                                      // 000000008008: BEBC0180
	v_readlane_b32 s82, v3, 6                                  // 00000000800C: D2890052 00010D03
	s_and_b32 s82, s82, 0xffffff                               // 000000008014: 8652FF52 00FFFFFF
	s_cmp_lt_u32 s82, s66                                      // 00000000801C: BF0A4252
	s_cselect_b32 s20, s36, s60                                // 000000008020: 85143C24
	v_readlane_b32 s82, v3, 7                                  // 000000008024: D2890052 00010F03
	s_and_b32 s82, s82, 0xffffff                               // 00000000802C: 8652FF52 00FFFFFF
	s_cmp_lt_u32 s82, s66                                      // 000000008034: BF0A4252
	s_cselect_b32 s21, s36, s60                                // 000000008038: 85153C24
	s_mov_b64 exec, s[20:21]                                   // 00000000803C: BEFE0114
	buffer_store_dword v57, v6, s[8:11], 0 offen               // 000000008040: E0701000 80023906
	buffer_store_dword v59, v6, s[8:11], 0 offen offset:128    // 000000008048: E0701080 80023B06
	s_mov_b64 exec, s[36:37]                                   // 000000008050: BEFE0124
	v_mov_b32_e32 v6, v46                                      // 000000008054: 7E0C032E
	s_mov_b64 s[60:61], 0                                      // 000000008058: BEBC0180
	v_readlane_b32 s82, v3, 8                                  // 00000000805C: D2890052 00011103
	s_and_b32 s82, s82, 0xffffff                               // 000000008064: 8652FF52 00FFFFFF
	s_cmp_lt_u32 s82, s66                                      // 00000000806C: BF0A4252
	s_cselect_b32 s20, s36, s60                                // 000000008070: 85143C24
	v_readlane_b32 s82, v3, 9                                  // 000000008074: D2890052 00011303
	s_and_b32 s82, s82, 0xffffff                               // 00000000807C: 8652FF52 00FFFFFF
	s_cmp_lt_u32 s82, s66                                      // 000000008084: BF0A4252
	s_cselect_b32 s21, s36, s60                                // 000000008088: 85153C24
	s_mov_b64 exec, s[20:21]                                   // 00000000808C: BEFE0114
	buffer_store_dword v60, v6, s[8:11], 0 offen               // 000000008090: E0701000 80023C06
	buffer_store_dword v62, v6, s[8:11], 0 offen offset:128    // 000000008098: E0701080 80023E06
	s_mov_b64 exec, s[36:37]                                   // 0000000080A0: BEFE0124
	v_mov_b32_e32 v6, v47                                      // 0000000080A4: 7E0C032F
	s_mov_b64 s[60:61], 0                                      // 0000000080A8: BEBC0180
	v_readlane_b32 s82, v3, 10                                 // 0000000080AC: D2890052 00011503
	s_and_b32 s82, s82, 0xffffff                               // 0000000080B4: 8652FF52 00FFFFFF
	s_cmp_lt_u32 s82, s66                                      // 0000000080BC: BF0A4252
	s_cselect_b32 s20, s36, s60                                // 0000000080C0: 85143C24
	v_readlane_b32 s82, v3, 11                                 // 0000000080C4: D2890052 00011703
	s_and_b32 s82, s82, 0xffffff                               // 0000000080CC: 8652FF52 00FFFFFF
	s_cmp_lt_u32 s82, s66                                      // 0000000080D4: BF0A4252
	s_cselect_b32 s21, s36, s60                                // 0000000080D8: 85153C24
	s_mov_b64 exec, s[20:21]                                   // 0000000080DC: BEFE0114
	buffer_store_dword v61, v6, s[8:11], 0 offen               // 0000000080E0: E0701000 80023D06
	buffer_store_dword v63, v6, s[8:11], 0 offen offset:128    // 0000000080E8: E0701080 80023F06
	s_mov_b64 exec, s[36:37]                                   // 0000000080F0: BEFE0124
	s_branch label_18DF                                        // 0000000080F4: BF82031E

00000000000080f8 <label_15C1>:
	ds_write_b64 v20, v[52:53]                                 // 0000000080F8: D89A0000 00003414
	ds_write_b64 v20, v[56:57] offset:4352                     // 000000008100: D89A1100 00003814
	ds_write_b64 v20, v[60:61] offset:8704                     // 000000008108: D89A2200 00003C14
	ds_write_b64 v20, v[64:65] offset:2176                     // 000000008110: D89A0880 00004014
	ds_write_b64 v20, v[68:69] offset:6528                     // 000000008118: D89A1980 00004414
	ds_write_b64 v20, v[72:73] offset:10880                    // 000000008120: D89A2A80 00004814
	v_lshrrev_b32_e32 v4, 5, v0                                // 000000008128: 20080085
	v_xor_b32_e32 v5, 1, v4                                    // 00000000812C: 2A0A0881
	s_mul_i32 s60, s65, 2                                      // 000000008130: 923C8241
	s_cmp_eq_u32 s88, 0                                        // 000000008134: BF068058
	s_cselect_b32 s61, 1, 4                                    // 000000008138: 853D8481
	s_mul_i32 s60, s61, s60                                    // 00000000813C: 923C3C3D
	v_readlane_b32 s82, v3, 0                                  // 000000008140: D2890052 00010103
	s_lshr_b32 s61, s82, 24                                    // 000000008148: 8F3D9852
	s_and_b32 s82, s82, 0xffffff                               // 00000000814C: 8652FF52 00FFFFFF
	s_mul_i32 s82, s82, s71                                    // 000000008154: 92524752
	s_mul_i32 s61, s60, s61                                    // 000000008158: 923D3D3C
	s_add_u32 s82, s82, s61                                    // 00000000815C: 80523D52
	v_mul_lo_u32 v6, v5, s82                                   // 000000008160: D2850006 0000A505
	v_readlane_b32 s82, v3, 1                                  // 000000008168: D2890052 00010303
	s_lshr_b32 s61, s82, 24                                    // 000000008170: 8F3D9852
	s_and_b32 s82, s82, 0xffffff                               // 000000008174: 8652FF52 00FFFFFF
	s_mul_i32 s82, s82, s71                                    // 00000000817C: 92524752
	s_mul_i32 s61, s60, s61                                    // 000000008180: 923D3D3C
	s_add_u32 s82, s82, s61                                    // 000000008184: 80523D52
	v_mul_lo_u32 v7, v4, s82                                   // 000000008188: D2850007 0000A504
	v_add_u32_e32 v42, v6, v7                                  // 000000008190: 68540F06
	v_readlane_b32 s82, v3, 2                                  // 000000008194: D2890052 00010503
	s_lshr_b32 s61, s82, 24                                    // 00000000819C: 8F3D9852
	s_and_b32 s82, s82, 0xffffff                               // 0000000081A0: 8652FF52 00FFFFFF
	s_mul_i32 s82, s82, s71                                    // 0000000081A8: 92524752
	s_mul_i32 s61, s60, s61                                    // 0000000081AC: 923D3D3C
	s_add_u32 s82, s82, s61                                    // 0000000081B0: 80523D52
	v_mul_lo_u32 v6, v5, s82                                   // 0000000081B4: D2850006 0000A505
	v_readlane_b32 s82, v3, 3                                  // 0000000081BC: D2890052 00010703
	s_lshr_b32 s61, s82, 24                                    // 0000000081C4: 8F3D9852
	s_and_b32 s82, s82, 0xffffff                               // 0000000081C8: 8652FF52 00FFFFFF
	s_mul_i32 s82, s82, s71                                    // 0000000081D0: 92524752
	s_mul_i32 s61, s60, s61                                    // 0000000081D4: 923D3D3C
	s_add_u32 s82, s82, s61                                    // 0000000081D8: 80523D52
	v_mul_lo_u32 v7, v4, s82                                   // 0000000081DC: D2850007 0000A504
	v_add_u32_e32 v43, v6, v7                                  // 0000000081E4: 68560F06
	v_readlane_b32 s82, v3, 4                                  // 0000000081E8: D2890052 00010903
	s_lshr_b32 s61, s82, 24                                    // 0000000081F0: 8F3D9852
	s_and_b32 s82, s82, 0xffffff                               // 0000000081F4: 8652FF52 00FFFFFF
	s_mul_i32 s82, s82, s71                                    // 0000000081FC: 92524752
	s_mul_i32 s61, s60, s61                                    // 000000008200: 923D3D3C
	s_add_u32 s82, s82, s61                                    // 000000008204: 80523D52
	v_mul_lo_u32 v6, v5, s82                                   // 000000008208: D2850006 0000A505
	v_readlane_b32 s82, v3, 5                                  // 000000008210: D2890052 00010B03
	s_lshr_b32 s61, s82, 24                                    // 000000008218: 8F3D9852
	s_and_b32 s82, s82, 0xffffff                               // 00000000821C: 8652FF52 00FFFFFF
	s_mul_i32 s82, s82, s71                                    // 000000008224: 92524752
	s_mul_i32 s61, s60, s61                                    // 000000008228: 923D3D3C
	s_add_u32 s82, s82, s61                                    // 00000000822C: 80523D52
	v_mul_lo_u32 v7, v4, s82                                   // 000000008230: D2850007 0000A504
	v_add_u32_e32 v44, v6, v7                                  // 000000008238: 68580F06
	v_readlane_b32 s82, v3, 6                                  // 00000000823C: D2890052 00010D03
	s_lshr_b32 s61, s82, 24                                    // 000000008244: 8F3D9852
	s_and_b32 s82, s82, 0xffffff                               // 000000008248: 8652FF52 00FFFFFF
	s_mul_i32 s82, s82, s71                                    // 000000008250: 92524752
	s_mul_i32 s61, s60, s61                                    // 000000008254: 923D3D3C
	s_add_u32 s82, s82, s61                                    // 000000008258: 80523D52
	v_mul_lo_u32 v6, v5, s82                                   // 00000000825C: D2850006 0000A505
	v_readlane_b32 s82, v3, 7                                  // 000000008264: D2890052 00010F03
	s_lshr_b32 s61, s82, 24                                    // 00000000826C: 8F3D9852
	s_and_b32 s82, s82, 0xffffff                               // 000000008270: 8652FF52 00FFFFFF
	s_mul_i32 s82, s82, s71                                    // 000000008278: 92524752
	s_mul_i32 s61, s60, s61                                    // 00000000827C: 923D3D3C
	s_add_u32 s82, s82, s61                                    // 000000008280: 80523D52
	v_mul_lo_u32 v7, v4, s82                                   // 000000008284: D2850007 0000A504
	v_add_u32_e32 v45, v6, v7                                  // 00000000828C: 685A0F06
	v_readlane_b32 s82, v3, 8                                  // 000000008290: D2890052 00011103
	s_lshr_b32 s61, s82, 24                                    // 000000008298: 8F3D9852
	s_and_b32 s82, s82, 0xffffff                               // 00000000829C: 8652FF52 00FFFFFF
	s_mul_i32 s82, s82, s71                                    // 0000000082A4: 92524752
	s_mul_i32 s61, s60, s61                                    // 0000000082A8: 923D3D3C
	s_add_u32 s82, s82, s61                                    // 0000000082AC: 80523D52
	v_mul_lo_u32 v6, v5, s82                                   // 0000000082B0: D2850006 0000A505
	v_readlane_b32 s82, v3, 9                                  // 0000000082B8: D2890052 00011303
	s_lshr_b32 s61, s82, 24                                    // 0000000082C0: 8F3D9852
	s_and_b32 s82, s82, 0xffffff                               // 0000000082C4: 8652FF52 00FFFFFF
	s_mul_i32 s82, s82, s71                                    // 0000000082CC: 92524752
	s_mul_i32 s61, s60, s61                                    // 0000000082D0: 923D3D3C
	s_add_u32 s82, s82, s61                                    // 0000000082D4: 80523D52
	v_mul_lo_u32 v7, v4, s82                                   // 0000000082D8: D2850007 0000A504
	v_add_u32_e32 v46, v6, v7                                  // 0000000082E0: 685C0F06
	v_readlane_b32 s82, v3, 10                                 // 0000000082E4: D2890052 00011503
	s_lshr_b32 s61, s82, 24                                    // 0000000082EC: 8F3D9852
	s_and_b32 s82, s82, 0xffffff                               // 0000000082F0: 8652FF52 00FFFFFF
	s_mul_i32 s82, s82, s71                                    // 0000000082F8: 92524752
	s_mul_i32 s61, s60, s61                                    // 0000000082FC: 923D3D3C
	s_add_u32 s82, s82, s61                                    // 000000008300: 80523D52
	v_mul_lo_u32 v6, v5, s82                                   // 000000008304: D2850006 0000A505
	v_readlane_b32 s82, v3, 11                                 // 00000000830C: D2890052 00011703
	s_lshr_b32 s61, s82, 24                                    // 000000008314: 8F3D9852
	s_and_b32 s82, s82, 0xffffff                               // 000000008318: 8652FF52 00FFFFFF
	s_mul_i32 s82, s82, s71                                    // 000000008320: 92524752
	s_mul_i32 s61, s60, s61                                    // 000000008324: 923D3D3C
	s_add_u32 s82, s82, s61                                    // 000000008328: 80523D52
	v_mul_lo_u32 v7, v4, s82                                   // 00000000832C: D2850007 0000A504
	v_add_u32_e32 v47, v6, v7                                  // 000000008334: 685E0F06
	v_and_b32_e32 v4, 31, v0                                   // 000000008338: 2608009F
	v_lshrrev_b32_e32 v4, 1, v4                                // 00000000833C: 20080881
	s_cmp_eq_u32 s88, 0                                        // 000000008340: BF068058
	s_cselect_b32 s61, 2, 4                                    // 000000008344: 853D8482
	v_mul_lo_u32 v4, v4, s61                                   // 000000008348: D2850004 00007B04
	v_and_b32_e64 v5, v0, 1                                    // 000000008350: D1130005 00010300
	v_add_u32_e32 v4, v4, v5                                   // 000000008358: 68080B04
	v_lshlrev_b32_e32 v4, 2, v4                                // 00000000835C: 24080882
	v_add_u32_e32 v42, v42, v4                                 // 000000008360: 6854092A
	v_add_u32_e32 v43, v43, v4                                 // 000000008364: 6856092B
	v_add_u32_e32 v44, v44, v4                                 // 000000008368: 6858092C
	v_add_u32_e32 v45, v45, v4                                 // 00000000836C: 685A092D
	v_add_u32_e32 v46, v46, v4                                 // 000000008370: 685C092E
	v_add_u32_e32 v47, v47, v4                                 // 000000008374: 685E092F
	s_waitcnt lgkmcnt(0)                                       // 000000008378: BF8CC07F
	s_barrier                                                  // 00000000837C: BF8A0000
	ds_read_b32 v52, v21                                       // 000000008380: D86C0000 34000015
	ds_read_b32 v53, v21 offset:64                             // 000000008388: D86C0040 35000015
	ds_read_b32 v56, v21 offset:2176                           // 000000008390: D86C0880 38000015
	ds_read_b32 v57, v21 offset:2240                           // 000000008398: D86C08C0 39000015
	ds_read_b32 v60, v21 offset:4352                           // 0000000083A0: D86C1100 3C000015
	ds_read_b32 v61, v21 offset:4416                           // 0000000083A8: D86C1140 3D000015
	ds_read_b32 v64, v21 offset:6528                           // 0000000083B0: D86C1980 40000015
	ds_read_b32 v65, v21 offset:6592                           // 0000000083B8: D86C19C0 41000015
	ds_read_b32 v68, v21 offset:8704                           // 0000000083C0: D86C2200 44000015
	ds_read_b32 v69, v21 offset:8768                           // 0000000083C8: D86C2240 45000015
	ds_read_b32 v72, v21 offset:10880                          // 0000000083D0: D86C2A80 48000015
	ds_read_b32 v73, v21 offset:10944                          // 0000000083D8: D86C2AC0 49000015
	s_waitcnt lgkmcnt(0)                                       // 0000000083E0: BF8CC07F
	s_mov_b32 s36, -1                                          // 0000000083E4: BEA400C1
	s_mov_b32 s37, -1                                          // 0000000083E8: BEA500C1
	v_mov_b32_e32 v7, 0                                        // 0000000083EC: 7E0E0280
	s_mov_b64 exec, s[36:37]                                   // 0000000083F0: BEFE0124
	v_mov_b32_e32 v6, v42                                      // 0000000083F4: 7E0C032A
	s_mov_b64 s[60:61], 0                                      // 0000000083F8: BEBC0180
	v_readlane_b32 s82, v3, 0                                  // 0000000083FC: D2890052 00010103
	s_and_b32 s82, s82, 0xffffff                               // 000000008404: 8652FF52 00FFFFFF
	s_cmp_lt_u32 s82, s66                                      // 00000000840C: BF0A4252
	s_cselect_b32 s20, s36, s60                                // 000000008410: 85143C24
	v_readlane_b32 s82, v3, 1                                  // 000000008414: D2890052 00010303
	s_and_b32 s82, s82, 0xffffff                               // 00000000841C: 8652FF52 00FFFFFF
	s_cmp_lt_u32 s82, s66                                      // 000000008424: BF0A4252
	s_cselect_b32 s21, s36, s60                                // 000000008428: 85153C24
	s_mov_b64 exec, s[20:21]                                   // 00000000842C: BEFE0114
	global_atomic_add_f32 v6, v52, s[8:9]                      // 000000008430: DD348000 00083406
	global_atomic_add_f32 v6, v56, s[8:9] offset:256           // 000000008438: DD348100 00083806
	s_mov_b64 exec, s[36:37]                                   // 000000008440: BEFE0124
	v_mov_b32_e32 v6, v43                                      // 000000008444: 7E0C032B
	s_mov_b64 s[60:61], 0                                      // 000000008448: BEBC0180
	v_readlane_b32 s82, v3, 2                                  // 00000000844C: D2890052 00010503
	s_and_b32 s82, s82, 0xffffff                               // 000000008454: 8652FF52 00FFFFFF
	s_cmp_lt_u32 s82, s66                                      // 00000000845C: BF0A4252
	s_cselect_b32 s20, s36, s60                                // 000000008460: 85143C24
	v_readlane_b32 s82, v3, 3                                  // 000000008464: D2890052 00010703
	s_and_b32 s82, s82, 0xffffff                               // 00000000846C: 8652FF52 00FFFFFF
	s_cmp_lt_u32 s82, s66                                      // 000000008474: BF0A4252
	s_cselect_b32 s21, s36, s60                                // 000000008478: 85153C24
	s_mov_b64 exec, s[20:21]                                   // 00000000847C: BEFE0114
	global_atomic_add_f32 v6, v53, s[8:9]                      // 000000008480: DD348000 00083506
	global_atomic_add_f32 v6, v57, s[8:9] offset:256           // 000000008488: DD348100 00083906
	s_mov_b64 exec, s[36:37]                                   // 000000008490: BEFE0124
	v_mov_b32_e32 v6, v44                                      // 000000008494: 7E0C032C
	s_mov_b64 s[60:61], 0                                      // 000000008498: BEBC0180
	v_readlane_b32 s82, v3, 4                                  // 00000000849C: D2890052 00010903
	s_and_b32 s82, s82, 0xffffff                               // 0000000084A4: 8652FF52 00FFFFFF
	s_cmp_lt_u32 s82, s66                                      // 0000000084AC: BF0A4252
	s_cselect_b32 s20, s36, s60                                // 0000000084B0: 85143C24
	v_readlane_b32 s82, v3, 5                                  // 0000000084B4: D2890052 00010B03
	s_and_b32 s82, s82, 0xffffff                               // 0000000084BC: 8652FF52 00FFFFFF
	s_cmp_lt_u32 s82, s66                                      // 0000000084C4: BF0A4252
	s_cselect_b32 s21, s36, s60                                // 0000000084C8: 85153C24
	s_mov_b64 exec, s[20:21]                                   // 0000000084CC: BEFE0114
	global_atomic_add_f32 v6, v60, s[8:9]                      // 0000000084D0: DD348000 00083C06
	global_atomic_add_f32 v6, v64, s[8:9] offset:256           // 0000000084D8: DD348100 00084006
	s_mov_b64 exec, s[36:37]                                   // 0000000084E0: BEFE0124
	v_mov_b32_e32 v6, v45                                      // 0000000084E4: 7E0C032D
	s_mov_b64 s[60:61], 0                                      // 0000000084E8: BEBC0180
	v_readlane_b32 s82, v3, 6                                  // 0000000084EC: D2890052 00010D03
	s_and_b32 s82, s82, 0xffffff                               // 0000000084F4: 8652FF52 00FFFFFF
	s_cmp_lt_u32 s82, s66                                      // 0000000084FC: BF0A4252
	s_cselect_b32 s20, s36, s60                                // 000000008500: 85143C24
	v_readlane_b32 s82, v3, 7                                  // 000000008504: D2890052 00010F03
	s_and_b32 s82, s82, 0xffffff                               // 00000000850C: 8652FF52 00FFFFFF
	s_cmp_lt_u32 s82, s66                                      // 000000008514: BF0A4252
	s_cselect_b32 s21, s36, s60                                // 000000008518: 85153C24
	s_mov_b64 exec, s[20:21]                                   // 00000000851C: BEFE0114
	global_atomic_add_f32 v6, v61, s[8:9]                      // 000000008520: DD348000 00083D06
	global_atomic_add_f32 v6, v65, s[8:9] offset:256           // 000000008528: DD348100 00084106
	s_mov_b64 exec, s[36:37]                                   // 000000008530: BEFE0124
	v_mov_b32_e32 v6, v46                                      // 000000008534: 7E0C032E
	s_mov_b64 s[60:61], 0                                      // 000000008538: BEBC0180
	v_readlane_b32 s82, v3, 8                                  // 00000000853C: D2890052 00011103
	s_and_b32 s82, s82, 0xffffff                               // 000000008544: 8652FF52 00FFFFFF
	s_cmp_lt_u32 s82, s66                                      // 00000000854C: BF0A4252
	s_cselect_b32 s20, s36, s60                                // 000000008550: 85143C24
	v_readlane_b32 s82, v3, 9                                  // 000000008554: D2890052 00011303
	s_and_b32 s82, s82, 0xffffff                               // 00000000855C: 8652FF52 00FFFFFF
	s_cmp_lt_u32 s82, s66                                      // 000000008564: BF0A4252
	s_cselect_b32 s21, s36, s60                                // 000000008568: 85153C24
	s_mov_b64 exec, s[20:21]                                   // 00000000856C: BEFE0114
	global_atomic_add_f32 v6, v68, s[8:9]                      // 000000008570: DD348000 00084406
	global_atomic_add_f32 v6, v72, s[8:9] offset:256           // 000000008578: DD348100 00084806
	s_mov_b64 exec, s[36:37]                                   // 000000008580: BEFE0124
	v_mov_b32_e32 v6, v47                                      // 000000008584: 7E0C032F
	s_mov_b64 s[60:61], 0                                      // 000000008588: BEBC0180
	v_readlane_b32 s82, v3, 10                                 // 00000000858C: D2890052 00011503
	s_and_b32 s82, s82, 0xffffff                               // 000000008594: 8652FF52 00FFFFFF
	s_cmp_lt_u32 s82, s66                                      // 00000000859C: BF0A4252
	s_cselect_b32 s20, s36, s60                                // 0000000085A0: 85143C24
	v_readlane_b32 s82, v3, 11                                 // 0000000085A4: D2890052 00011703
	s_and_b32 s82, s82, 0xffffff                               // 0000000085AC: 8652FF52 00FFFFFF
	s_cmp_lt_u32 s82, s66                                      // 0000000085B4: BF0A4252
	s_cselect_b32 s21, s36, s60                                // 0000000085B8: 85153C24
	s_mov_b64 exec, s[20:21]                                   // 0000000085BC: BEFE0114
	global_atomic_add_f32 v6, v69, s[8:9]                      // 0000000085C0: DD348000 00084506
	global_atomic_add_f32 v6, v73, s[8:9] offset:256           // 0000000085C8: DD348100 00084906
	s_mov_b64 exec, s[36:37]                                   // 0000000085D0: BEFE0124
	ds_write_b64 v20, v[54:55]                                 // 0000000085D4: D89A0000 00003614
	ds_write_b64 v20, v[58:59] offset:4352                     // 0000000085DC: D89A1100 00003A14
	ds_write_b64 v20, v[62:63] offset:8704                     // 0000000085E4: D89A2200 00003E14
	ds_write_b64 v20, v[66:67] offset:2176                     // 0000000085EC: D89A0880 00004214
	ds_write_b64 v20, v[70:71] offset:6528                     // 0000000085F4: D89A1980 00004614
	ds_write_b64 v20, v[74:75] offset:10880                    // 0000000085FC: D89A2A80 00004A14
	s_waitcnt lgkmcnt(0)                                       // 000000008604: BF8CC07F
	s_barrier                                                  // 000000008608: BF8A0000
	ds_read_b32 v54, v21                                       // 00000000860C: D86C0000 36000015
	ds_read_b32 v55, v21 offset:64                             // 000000008614: D86C0040 37000015
	ds_read_b32 v58, v21 offset:2176                           // 00000000861C: D86C0880 3A000015
	ds_read_b32 v59, v21 offset:2240                           // 000000008624: D86C08C0 3B000015
	ds_read_b32 v62, v21 offset:4352                           // 00000000862C: D86C1100 3E000015
	ds_read_b32 v63, v21 offset:4416                           // 000000008634: D86C1140 3F000015
	ds_read_b32 v66, v21 offset:6528                           // 00000000863C: D86C1980 42000015
	ds_read_b32 v67, v21 offset:6592                           // 000000008644: D86C19C0 43000015
	ds_read_b32 v70, v21 offset:8704                           // 00000000864C: D86C2200 46000015
	ds_read_b32 v71, v21 offset:8768                           // 000000008654: D86C2240 47000015
	ds_read_b32 v74, v21 offset:10880                          // 00000000865C: D86C2A80 4A000015
	ds_read_b32 v75, v21 offset:10944                          // 000000008664: D86C2AC0 4B000015
	s_waitcnt lgkmcnt(0)                                       // 00000000866C: BF8CC07F
	v_mov_b32_e32 v7, 0                                        // 000000008670: 7E0E0280
	s_mov_b64 exec, s[36:37]                                   // 000000008674: BEFE0124
	v_mov_b32_e32 v6, v42                                      // 000000008678: 7E0C032A
	s_mov_b64 s[60:61], 0                                      // 00000000867C: BEBC0180
	v_readlane_b32 s82, v3, 0                                  // 000000008680: D2890052 00010103
	s_and_b32 s82, s82, 0xffffff                               // 000000008688: 8652FF52 00FFFFFF
	s_cmp_lt_u32 s82, s66                                      // 000000008690: BF0A4252
	s_cselect_b32 s20, s36, s60                                // 000000008694: 85143C24
	v_readlane_b32 s82, v3, 1                                  // 000000008698: D2890052 00010303
	s_and_b32 s82, s82, 0xffffff                               // 0000000086A0: 8652FF52 00FFFFFF
	s_cmp_lt_u32 s82, s66                                      // 0000000086A8: BF0A4252
	s_cselect_b32 s21, s36, s60                                // 0000000086AC: 85153C24
	s_mov_b64 exec, s[20:21]                                   // 0000000086B0: BEFE0114
	global_atomic_add_f32 v6, v54, s[8:9] offset:8             // 0000000086B4: DD348008 00083606
	global_atomic_add_f32 v6, v58, s[8:9] offset:264           // 0000000086BC: DD348108 00083A06
	s_mov_b64 exec, s[36:37]                                   // 0000000086C4: BEFE0124
	v_mov_b32_e32 v6, v43                                      // 0000000086C8: 7E0C032B
	s_mov_b64 s[60:61], 0                                      // 0000000086CC: BEBC0180
	v_readlane_b32 s82, v3, 2                                  // 0000000086D0: D2890052 00010503
	s_and_b32 s82, s82, 0xffffff                               // 0000000086D8: 8652FF52 00FFFFFF
	s_cmp_lt_u32 s82, s66                                      // 0000000086E0: BF0A4252
	s_cselect_b32 s20, s36, s60                                // 0000000086E4: 85143C24
	v_readlane_b32 s82, v3, 3                                  // 0000000086E8: D2890052 00010703
	s_and_b32 s82, s82, 0xffffff                               // 0000000086F0: 8652FF52 00FFFFFF
	s_cmp_lt_u32 s82, s66                                      // 0000000086F8: BF0A4252
	s_cselect_b32 s21, s36, s60                                // 0000000086FC: 85153C24
	s_mov_b64 exec, s[20:21]                                   // 000000008700: BEFE0114
	global_atomic_add_f32 v6, v55, s[8:9] offset:8             // 000000008704: DD348008 00083706
	global_atomic_add_f32 v6, v59, s[8:9] offset:264           // 00000000870C: DD348108 00083B06
	s_mov_b64 exec, s[36:37]                                   // 000000008714: BEFE0124
	v_mov_b32_e32 v6, v44                                      // 000000008718: 7E0C032C
	s_mov_b64 s[60:61], 0                                      // 00000000871C: BEBC0180
	v_readlane_b32 s82, v3, 4                                  // 000000008720: D2890052 00010903
	s_and_b32 s82, s82, 0xffffff                               // 000000008728: 8652FF52 00FFFFFF
	s_cmp_lt_u32 s82, s66                                      // 000000008730: BF0A4252
	s_cselect_b32 s20, s36, s60                                // 000000008734: 85143C24
	v_readlane_b32 s82, v3, 5                                  // 000000008738: D2890052 00010B03
	s_and_b32 s82, s82, 0xffffff                               // 000000008740: 8652FF52 00FFFFFF
	s_cmp_lt_u32 s82, s66                                      // 000000008748: BF0A4252
	s_cselect_b32 s21, s36, s60                                // 00000000874C: 85153C24
	s_mov_b64 exec, s[20:21]                                   // 000000008750: BEFE0114
	global_atomic_add_f32 v6, v62, s[8:9] offset:8             // 000000008754: DD348008 00083E06
	global_atomic_add_f32 v6, v66, s[8:9] offset:264           // 00000000875C: DD348108 00084206
	s_mov_b64 exec, s[36:37]                                   // 000000008764: BEFE0124
	v_mov_b32_e32 v6, v45                                      // 000000008768: 7E0C032D
	s_mov_b64 s[60:61], 0                                      // 00000000876C: BEBC0180
	v_readlane_b32 s82, v3, 6                                  // 000000008770: D2890052 00010D03
	s_and_b32 s82, s82, 0xffffff                               // 000000008778: 8652FF52 00FFFFFF
	s_cmp_lt_u32 s82, s66                                      // 000000008780: BF0A4252
	s_cselect_b32 s20, s36, s60                                // 000000008784: 85143C24
	v_readlane_b32 s82, v3, 7                                  // 000000008788: D2890052 00010F03
	s_and_b32 s82, s82, 0xffffff                               // 000000008790: 8652FF52 00FFFFFF
	s_cmp_lt_u32 s82, s66                                      // 000000008798: BF0A4252
	s_cselect_b32 s21, s36, s60                                // 00000000879C: 85153C24
	s_mov_b64 exec, s[20:21]                                   // 0000000087A0: BEFE0114
	global_atomic_add_f32 v6, v63, s[8:9] offset:8             // 0000000087A4: DD348008 00083F06
	global_atomic_add_f32 v6, v67, s[8:9] offset:264           // 0000000087AC: DD348108 00084306
	s_mov_b64 exec, s[36:37]                                   // 0000000087B4: BEFE0124
	v_mov_b32_e32 v6, v46                                      // 0000000087B8: 7E0C032E
	s_mov_b64 s[60:61], 0                                      // 0000000087BC: BEBC0180
	v_readlane_b32 s82, v3, 8                                  // 0000000087C0: D2890052 00011103
	s_and_b32 s82, s82, 0xffffff                               // 0000000087C8: 8652FF52 00FFFFFF
	s_cmp_lt_u32 s82, s66                                      // 0000000087D0: BF0A4252
	s_cselect_b32 s20, s36, s60                                // 0000000087D4: 85143C24
	v_readlane_b32 s82, v3, 9                                  // 0000000087D8: D2890052 00011303
	s_and_b32 s82, s82, 0xffffff                               // 0000000087E0: 8652FF52 00FFFFFF
	s_cmp_lt_u32 s82, s66                                      // 0000000087E8: BF0A4252
	s_cselect_b32 s21, s36, s60                                // 0000000087EC: 85153C24
	s_mov_b64 exec, s[20:21]                                   // 0000000087F0: BEFE0114
	global_atomic_add_f32 v6, v70, s[8:9] offset:8             // 0000000087F4: DD348008 00084606
	global_atomic_add_f32 v6, v74, s[8:9] offset:264           // 0000000087FC: DD348108 00084A06
	s_mov_b64 exec, s[36:37]                                   // 000000008804: BEFE0124
	v_mov_b32_e32 v6, v47                                      // 000000008808: 7E0C032F
	s_mov_b64 s[60:61], 0                                      // 00000000880C: BEBC0180
	v_readlane_b32 s82, v3, 10                                 // 000000008810: D2890052 00011503
	s_and_b32 s82, s82, 0xffffff                               // 000000008818: 8652FF52 00FFFFFF
	s_cmp_lt_u32 s82, s66                                      // 000000008820: BF0A4252
	s_cselect_b32 s20, s36, s60                                // 000000008824: 85143C24
	v_readlane_b32 s82, v3, 11                                 // 000000008828: D2890052 00011703
	s_and_b32 s82, s82, 0xffffff                               // 000000008830: 8652FF52 00FFFFFF
	s_cmp_lt_u32 s82, s66                                      // 000000008838: BF0A4252
	s_cselect_b32 s21, s36, s60                                // 00000000883C: 85153C24
	s_mov_b64 exec, s[20:21]                                   // 000000008840: BEFE0114
	global_atomic_add_f32 v6, v71, s[8:9] offset:8             // 000000008844: DD348008 00084706
	global_atomic_add_f32 v6, v75, s[8:9] offset:264           // 00000000884C: DD348108 00084B06
	s_mov_b64 exec, s[36:37]                                   // 000000008854: BEFE0124
	ds_write_b64 v20, v[76:77]                                 // 000000008858: D89A0000 00004C14
	ds_write_b64 v20, v[80:81] offset:4352                     // 000000008860: D89A1100 00005014
	ds_write_b64 v20, v[84:85] offset:8704                     // 000000008868: D89A2200 00005414
	ds_write_b64 v20, v[88:89] offset:2176                     // 000000008870: D89A0880 00005814
	ds_write_b64 v20, v[92:93] offset:6528                     // 000000008878: D89A1980 00005C14
	ds_write_b64 v20, v[96:97] offset:10880                    // 000000008880: D89A2A80 00006014
	s_waitcnt lgkmcnt(0)                                       // 000000008888: BF8CC07F
	s_barrier                                                  // 00000000888C: BF8A0000
	ds_read_b32 v76, v21                                       // 000000008890: D86C0000 4C000015
	ds_read_b32 v77, v21 offset:64                             // 000000008898: D86C0040 4D000015
	ds_read_b32 v80, v21 offset:2176                           // 0000000088A0: D86C0880 50000015
	ds_read_b32 v81, v21 offset:2240                           // 0000000088A8: D86C08C0 51000015
	ds_read_b32 v84, v21 offset:4352                           // 0000000088B0: D86C1100 54000015
	ds_read_b32 v85, v21 offset:4416                           // 0000000088B8: D86C1140 55000015
	ds_read_b32 v88, v21 offset:6528                           // 0000000088C0: D86C1980 58000015
	ds_read_b32 v89, v21 offset:6592                           // 0000000088C8: D86C19C0 59000015
	ds_read_b32 v92, v21 offset:8704                           // 0000000088D0: D86C2200 5C000015
	ds_read_b32 v93, v21 offset:8768                           // 0000000088D8: D86C2240 5D000015
	ds_read_b32 v96, v21 offset:10880                          // 0000000088E0: D86C2A80 60000015
	ds_read_b32 v97, v21 offset:10944                          // 0000000088E8: D86C2AC0 61000015
	s_mul_i32 s60, s65, 4                                      // 0000000088F0: 923C8441
	s_add_u32 s8, s60, s8                                      // 0000000088F4: 8008083C
	s_addc_u32 s9, 0, s9                                       // 0000000088F8: 82090980
	s_waitcnt lgkmcnt(0)                                       // 0000000088FC: BF8CC07F
	v_mov_b32_e32 v7, 0                                        // 000000008900: 7E0E0280
	s_mov_b64 exec, s[36:37]                                   // 000000008904: BEFE0124
	v_mov_b32_e32 v6, v42                                      // 000000008908: 7E0C032A
	s_mov_b64 s[60:61], 0                                      // 00000000890C: BEBC0180
	v_readlane_b32 s82, v3, 0                                  // 000000008910: D2890052 00010103
	s_and_b32 s82, s82, 0xffffff                               // 000000008918: 8652FF52 00FFFFFF
	s_cmp_lt_u32 s82, s66                                      // 000000008920: BF0A4252
	s_cselect_b32 s20, s36, s60                                // 000000008924: 85143C24
	v_readlane_b32 s82, v3, 1                                  // 000000008928: D2890052 00010303
	s_and_b32 s82, s82, 0xffffff                               // 000000008930: 8652FF52 00FFFFFF
	s_cmp_lt_u32 s82, s66                                      // 000000008938: BF0A4252
	s_cselect_b32 s21, s36, s60                                // 00000000893C: 85153C24
	s_mov_b64 exec, s[20:21]                                   // 000000008940: BEFE0114
	global_atomic_add_f32 v6, v76, s[8:9]                      // 000000008944: DD348000 00084C06
	global_atomic_add_f32 v6, v80, s[8:9] offset:256           // 00000000894C: DD348100 00085006
	s_mov_b64 exec, s[36:37]                                   // 000000008954: BEFE0124
	v_mov_b32_e32 v6, v43                                      // 000000008958: 7E0C032B
	s_mov_b64 s[60:61], 0                                      // 00000000895C: BEBC0180
	v_readlane_b32 s82, v3, 2                                  // 000000008960: D2890052 00010503
	s_and_b32 s82, s82, 0xffffff                               // 000000008968: 8652FF52 00FFFFFF
	s_cmp_lt_u32 s82, s66                                      // 000000008970: BF0A4252
	s_cselect_b32 s20, s36, s60                                // 000000008974: 85143C24
	v_readlane_b32 s82, v3, 3                                  // 000000008978: D2890052 00010703
	s_and_b32 s82, s82, 0xffffff                               // 000000008980: 8652FF52 00FFFFFF
	s_cmp_lt_u32 s82, s66                                      // 000000008988: BF0A4252
	s_cselect_b32 s21, s36, s60                                // 00000000898C: 85153C24
	s_mov_b64 exec, s[20:21]                                   // 000000008990: BEFE0114
	global_atomic_add_f32 v6, v77, s[8:9]                      // 000000008994: DD348000 00084D06
	global_atomic_add_f32 v6, v81, s[8:9] offset:256           // 00000000899C: DD348100 00085106
	s_mov_b64 exec, s[36:37]                                   // 0000000089A4: BEFE0124
	v_mov_b32_e32 v6, v44                                      // 0000000089A8: 7E0C032C
	s_mov_b64 s[60:61], 0                                      // 0000000089AC: BEBC0180
	v_readlane_b32 s82, v3, 4                                  // 0000000089B0: D2890052 00010903
	s_and_b32 s82, s82, 0xffffff                               // 0000000089B8: 8652FF52 00FFFFFF
	s_cmp_lt_u32 s82, s66                                      // 0000000089C0: BF0A4252
	s_cselect_b32 s20, s36, s60                                // 0000000089C4: 85143C24
	v_readlane_b32 s82, v3, 5                                  // 0000000089C8: D2890052 00010B03
	s_and_b32 s82, s82, 0xffffff                               // 0000000089D0: 8652FF52 00FFFFFF
	s_cmp_lt_u32 s82, s66                                      // 0000000089D8: BF0A4252
	s_cselect_b32 s21, s36, s60                                // 0000000089DC: 85153C24
	s_mov_b64 exec, s[20:21]                                   // 0000000089E0: BEFE0114
	global_atomic_add_f32 v6, v84, s[8:9]                      // 0000000089E4: DD348000 00085406
	global_atomic_add_f32 v6, v88, s[8:9] offset:256           // 0000000089EC: DD348100 00085806
	s_mov_b64 exec, s[36:37]                                   // 0000000089F4: BEFE0124
	v_mov_b32_e32 v6, v45                                      // 0000000089F8: 7E0C032D
	s_mov_b64 s[60:61], 0                                      // 0000000089FC: BEBC0180
	v_readlane_b32 s82, v3, 6                                  // 000000008A00: D2890052 00010D03
	s_and_b32 s82, s82, 0xffffff                               // 000000008A08: 8652FF52 00FFFFFF
	s_cmp_lt_u32 s82, s66                                      // 000000008A10: BF0A4252
	s_cselect_b32 s20, s36, s60                                // 000000008A14: 85143C24
	v_readlane_b32 s82, v3, 7                                  // 000000008A18: D2890052 00010F03
	s_and_b32 s82, s82, 0xffffff                               // 000000008A20: 8652FF52 00FFFFFF
	s_cmp_lt_u32 s82, s66                                      // 000000008A28: BF0A4252
	s_cselect_b32 s21, s36, s60                                // 000000008A2C: 85153C24
	s_mov_b64 exec, s[20:21]                                   // 000000008A30: BEFE0114
	global_atomic_add_f32 v6, v85, s[8:9]                      // 000000008A34: DD348000 00085506
	global_atomic_add_f32 v6, v89, s[8:9] offset:256           // 000000008A3C: DD348100 00085906
	s_mov_b64 exec, s[36:37]                                   // 000000008A44: BEFE0124
	v_mov_b32_e32 v6, v46                                      // 000000008A48: 7E0C032E
	s_mov_b64 s[60:61], 0                                      // 000000008A4C: BEBC0180
	v_readlane_b32 s82, v3, 8                                  // 000000008A50: D2890052 00011103
	s_and_b32 s82, s82, 0xffffff                               // 000000008A58: 8652FF52 00FFFFFF
	s_cmp_lt_u32 s82, s66                                      // 000000008A60: BF0A4252
	s_cselect_b32 s20, s36, s60                                // 000000008A64: 85143C24
	v_readlane_b32 s82, v3, 9                                  // 000000008A68: D2890052 00011303
	s_and_b32 s82, s82, 0xffffff                               // 000000008A70: 8652FF52 00FFFFFF
	s_cmp_lt_u32 s82, s66                                      // 000000008A78: BF0A4252
	s_cselect_b32 s21, s36, s60                                // 000000008A7C: 85153C24
	s_mov_b64 exec, s[20:21]                                   // 000000008A80: BEFE0114
	global_atomic_add_f32 v6, v92, s[8:9]                      // 000000008A84: DD348000 00085C06
	global_atomic_add_f32 v6, v96, s[8:9] offset:256           // 000000008A8C: DD348100 00086006
	s_mov_b64 exec, s[36:37]                                   // 000000008A94: BEFE0124
	v_mov_b32_e32 v6, v47                                      // 000000008A98: 7E0C032F
	s_mov_b64 s[60:61], 0                                      // 000000008A9C: BEBC0180
	v_readlane_b32 s82, v3, 10                                 // 000000008AA0: D2890052 00011503
	s_and_b32 s82, s82, 0xffffff                               // 000000008AA8: 8652FF52 00FFFFFF
	s_cmp_lt_u32 s82, s66                                      // 000000008AB0: BF0A4252
	s_cselect_b32 s20, s36, s60                                // 000000008AB4: 85143C24
	v_readlane_b32 s82, v3, 11                                 // 000000008AB8: D2890052 00011703
	s_and_b32 s82, s82, 0xffffff                               // 000000008AC0: 8652FF52 00FFFFFF
	s_cmp_lt_u32 s82, s66                                      // 000000008AC8: BF0A4252
	s_cselect_b32 s21, s36, s60                                // 000000008ACC: 85153C24
	s_mov_b64 exec, s[20:21]                                   // 000000008AD0: BEFE0114
	global_atomic_add_f32 v6, v93, s[8:9]                      // 000000008AD4: DD348000 00085D06
	global_atomic_add_f32 v6, v97, s[8:9] offset:256           // 000000008ADC: DD348100 00086106
	s_mov_b64 exec, s[36:37]                                   // 000000008AE4: BEFE0124
	ds_write_b64 v20, v[78:79]                                 // 000000008AE8: D89A0000 00004E14
	ds_write_b64 v20, v[82:83] offset:4352                     // 000000008AF0: D89A1100 00005214
	ds_write_b64 v20, v[86:87] offset:8704                     // 000000008AF8: D89A2200 00005614
	ds_write_b64 v20, v[90:91] offset:2176                     // 000000008B00: D89A0880 00005A14
	ds_write_b64 v20, v[94:95] offset:6528                     // 000000008B08: D89A1980 00005E14
	ds_write_b64 v20, v[98:99] offset:10880                    // 000000008B10: D89A2A80 00006214
	s_waitcnt lgkmcnt(0)                                       // 000000008B18: BF8CC07F
	s_barrier                                                  // 000000008B1C: BF8A0000
	ds_read_b32 v78, v21                                       // 000000008B20: D86C0000 4E000015
	ds_read_b32 v79, v21 offset:64                             // 000000008B28: D86C0040 4F000015
	ds_read_b32 v82, v21 offset:2176                           // 000000008B30: D86C0880 52000015
	ds_read_b32 v83, v21 offset:2240                           // 000000008B38: D86C08C0 53000015
	ds_read_b32 v86, v21 offset:4352                           // 000000008B40: D86C1100 56000015
	ds_read_b32 v87, v21 offset:4416                           // 000000008B48: D86C1140 57000015
	ds_read_b32 v90, v21 offset:6528                           // 000000008B50: D86C1980 5A000015
	ds_read_b32 v91, v21 offset:6592                           // 000000008B58: D86C19C0 5B000015
	ds_read_b32 v94, v21 offset:8704                           // 000000008B60: D86C2200 5E000015
	ds_read_b32 v95, v21 offset:8768                           // 000000008B68: D86C2240 5F000015
	ds_read_b32 v98, v21 offset:10880                          // 000000008B70: D86C2A80 62000015
	ds_read_b32 v99, v21 offset:10944                          // 000000008B78: D86C2AC0 63000015
	s_waitcnt lgkmcnt(0)                                       // 000000008B80: BF8CC07F
	v_mov_b32_e32 v7, 0                                        // 000000008B84: 7E0E0280
	s_mov_b64 exec, s[36:37]                                   // 000000008B88: BEFE0124
	v_mov_b32_e32 v6, v42                                      // 000000008B8C: 7E0C032A
	s_mov_b64 s[60:61], 0                                      // 000000008B90: BEBC0180
	v_readlane_b32 s82, v3, 0                                  // 000000008B94: D2890052 00010103
	s_and_b32 s82, s82, 0xffffff                               // 000000008B9C: 8652FF52 00FFFFFF
	s_cmp_lt_u32 s82, s66                                      // 000000008BA4: BF0A4252
	s_cselect_b32 s20, s36, s60                                // 000000008BA8: 85143C24
	v_readlane_b32 s82, v3, 1                                  // 000000008BAC: D2890052 00010303
	s_and_b32 s82, s82, 0xffffff                               // 000000008BB4: 8652FF52 00FFFFFF
	s_cmp_lt_u32 s82, s66                                      // 000000008BBC: BF0A4252
	s_cselect_b32 s21, s36, s60                                // 000000008BC0: 85153C24
	s_mov_b64 exec, s[20:21]                                   // 000000008BC4: BEFE0114
	global_atomic_add_f32 v6, v78, s[8:9] offset:8             // 000000008BC8: DD348008 00084E06
	global_atomic_add_f32 v6, v82, s[8:9] offset:264           // 000000008BD0: DD348108 00085206
	s_mov_b64 exec, s[36:37]                                   // 000000008BD8: BEFE0124
	v_mov_b32_e32 v6, v43                                      // 000000008BDC: 7E0C032B
	s_mov_b64 s[60:61], 0                                      // 000000008BE0: BEBC0180
	v_readlane_b32 s82, v3, 2                                  // 000000008BE4: D2890052 00010503
	s_and_b32 s82, s82, 0xffffff                               // 000000008BEC: 8652FF52 00FFFFFF
	s_cmp_lt_u32 s82, s66                                      // 000000008BF4: BF0A4252
	s_cselect_b32 s20, s36, s60                                // 000000008BF8: 85143C24
	v_readlane_b32 s82, v3, 3                                  // 000000008BFC: D2890052 00010703
	s_and_b32 s82, s82, 0xffffff                               // 000000008C04: 8652FF52 00FFFFFF
	s_cmp_lt_u32 s82, s66                                      // 000000008C0C: BF0A4252
	s_cselect_b32 s21, s36, s60                                // 000000008C10: 85153C24
	s_mov_b64 exec, s[20:21]                                   // 000000008C14: BEFE0114
	global_atomic_add_f32 v6, v79, s[8:9] offset:8             // 000000008C18: DD348008 00084F06
	global_atomic_add_f32 v6, v83, s[8:9] offset:264           // 000000008C20: DD348108 00085306
	s_mov_b64 exec, s[36:37]                                   // 000000008C28: BEFE0124
	v_mov_b32_e32 v6, v44                                      // 000000008C2C: 7E0C032C
	s_mov_b64 s[60:61], 0                                      // 000000008C30: BEBC0180
	v_readlane_b32 s82, v3, 4                                  // 000000008C34: D2890052 00010903
	s_and_b32 s82, s82, 0xffffff                               // 000000008C3C: 8652FF52 00FFFFFF
	s_cmp_lt_u32 s82, s66                                      // 000000008C44: BF0A4252
	s_cselect_b32 s20, s36, s60                                // 000000008C48: 85143C24
	v_readlane_b32 s82, v3, 5                                  // 000000008C4C: D2890052 00010B03
	s_and_b32 s82, s82, 0xffffff                               // 000000008C54: 8652FF52 00FFFFFF
	s_cmp_lt_u32 s82, s66                                      // 000000008C5C: BF0A4252
	s_cselect_b32 s21, s36, s60                                // 000000008C60: 85153C24
	s_mov_b64 exec, s[20:21]                                   // 000000008C64: BEFE0114
	global_atomic_add_f32 v6, v86, s[8:9] offset:8             // 000000008C68: DD348008 00085606
	global_atomic_add_f32 v6, v90, s[8:9] offset:264           // 000000008C70: DD348108 00085A06
	s_mov_b64 exec, s[36:37]                                   // 000000008C78: BEFE0124
	v_mov_b32_e32 v6, v45                                      // 000000008C7C: 7E0C032D
	s_mov_b64 s[60:61], 0                                      // 000000008C80: BEBC0180
	v_readlane_b32 s82, v3, 6                                  // 000000008C84: D2890052 00010D03
	s_and_b32 s82, s82, 0xffffff                               // 000000008C8C: 8652FF52 00FFFFFF
	s_cmp_lt_u32 s82, s66                                      // 000000008C94: BF0A4252
	s_cselect_b32 s20, s36, s60                                // 000000008C98: 85143C24
	v_readlane_b32 s82, v3, 7                                  // 000000008C9C: D2890052 00010F03
	s_and_b32 s82, s82, 0xffffff                               // 000000008CA4: 8652FF52 00FFFFFF
	s_cmp_lt_u32 s82, s66                                      // 000000008CAC: BF0A4252
	s_cselect_b32 s21, s36, s60                                // 000000008CB0: 85153C24
	s_mov_b64 exec, s[20:21]                                   // 000000008CB4: BEFE0114
	global_atomic_add_f32 v6, v87, s[8:9] offset:8             // 000000008CB8: DD348008 00085706
	global_atomic_add_f32 v6, v91, s[8:9] offset:264           // 000000008CC0: DD348108 00085B06
	s_mov_b64 exec, s[36:37]                                   // 000000008CC8: BEFE0124
	v_mov_b32_e32 v6, v46                                      // 000000008CCC: 7E0C032E
	s_mov_b64 s[60:61], 0                                      // 000000008CD0: BEBC0180
	v_readlane_b32 s82, v3, 8                                  // 000000008CD4: D2890052 00011103
	s_and_b32 s82, s82, 0xffffff                               // 000000008CDC: 8652FF52 00FFFFFF
	s_cmp_lt_u32 s82, s66                                      // 000000008CE4: BF0A4252
	s_cselect_b32 s20, s36, s60                                // 000000008CE8: 85143C24
	v_readlane_b32 s82, v3, 9                                  // 000000008CEC: D2890052 00011303
	s_and_b32 s82, s82, 0xffffff                               // 000000008CF4: 8652FF52 00FFFFFF
	s_cmp_lt_u32 s82, s66                                      // 000000008CFC: BF0A4252
	s_cselect_b32 s21, s36, s60                                // 000000008D00: 85153C24
	s_mov_b64 exec, s[20:21]                                   // 000000008D04: BEFE0114
	global_atomic_add_f32 v6, v94, s[8:9] offset:8             // 000000008D08: DD348008 00085E06
	global_atomic_add_f32 v6, v98, s[8:9] offset:264           // 000000008D10: DD348108 00086206
	s_mov_b64 exec, s[36:37]                                   // 000000008D18: BEFE0124
	v_mov_b32_e32 v6, v47                                      // 000000008D1C: 7E0C032F
	s_mov_b64 s[60:61], 0                                      // 000000008D20: BEBC0180
	v_readlane_b32 s82, v3, 10                                 // 000000008D24: D2890052 00011503
	s_and_b32 s82, s82, 0xffffff                               // 000000008D2C: 8652FF52 00FFFFFF
	s_cmp_lt_u32 s82, s66                                      // 000000008D34: BF0A4252
	s_cselect_b32 s20, s36, s60                                // 000000008D38: 85143C24
	v_readlane_b32 s82, v3, 11                                 // 000000008D3C: D2890052 00011703
	s_and_b32 s82, s82, 0xffffff                               // 000000008D44: 8652FF52 00FFFFFF
	s_cmp_lt_u32 s82, s66                                      // 000000008D4C: BF0A4252
	s_cselect_b32 s21, s36, s60                                // 000000008D50: 85153C24
	s_mov_b64 exec, s[20:21]                                   // 000000008D54: BEFE0114
	global_atomic_add_f32 v6, v95, s[8:9] offset:8             // 000000008D58: DD348008 00085F06
	global_atomic_add_f32 v6, v99, s[8:9] offset:264           // 000000008D60: DD348108 00086306
	s_mov_b64 exec, s[36:37]                                   // 000000008D68: BEFE0124
	s_branch label_18DF                                        // 000000008D6C: BF820000

0000000000008d70 <label_18DF>:
	s_waitcnt vmcnt(0) expcnt(0) lgkmcnt(0)                    // 000000008D70: BF8C0000
	s_endpgm                                                   // 000000008D74: BF810000
